;; amdgpu-corpus repo=ggml-org/llama.cpp kind=compiled arch=gfx906 opt=O3
	.amdgcn_target "amdgcn-amd-amdhsa--gfx906"
	.amdhsa_code_object_version 6
	.text
	.p2align	2                               ; -- Begin function __ockl_printf_append_string_n
	.type	__ockl_printf_append_string_n,@function
__ockl_printf_append_string_n:          ; @__ockl_printf_append_string_n
; %bb.0:
	s_waitcnt vmcnt(0) expcnt(0) lgkmcnt(0)
	v_mov_b32_e32 v7, v3
	v_mov_b32_e32 v6, v2
	v_cmp_ne_u64_e32 vcc, 0, v[6:7]
                                        ; kill: def $vgpr1 killed $vgpr1 def $vgpr0
	v_mov_b32_e32 v3, v0
	s_mov_b64 s[6:7], 0
	v_mbcnt_lo_u32_b32 v2, -1, 0
	s_and_saveexec_b64 s[4:5], vcc
	s_xor_b64 s[10:11], exec, s[4:5]
	s_cbranch_execz .LBB0_86
; %bb.1:
	s_load_dwordx2 s[12:13], s[8:9], 0x50
	v_and_b32_e32 v33, 2, v3
	s_mov_b32 s22, 0
	v_mov_b32_e32 v28, 0
	v_and_b32_e32 v0, -3, v3
	v_mbcnt_hi_u32_b32 v34, -1, v2
	s_movk_i32 s23, 0x1e0
	v_mov_b32_e32 v10, 2
	v_mov_b32_e32 v11, 1
	s_branch .LBB0_3
.LBB0_2:                                ;   in Loop: Header=BB0_3 Depth=1
	s_or_b64 exec, exec, s[16:17]
	v_sub_co_u32_e32 v4, vcc, v4, v29
	v_subb_co_u32_e32 v5, vcc, v5, v30, vcc
	v_cmp_eq_u64_e32 vcc, 0, v[4:5]
	s_or_b64 s[6:7], vcc, s[6:7]
	v_add_co_u32_e32 v6, vcc, v6, v29
	v_addc_co_u32_e32 v7, vcc, v7, v30, vcc
	s_andn2_b64 exec, exec, s[6:7]
	s_cbranch_execz .LBB0_85
.LBB0_3:                                ; =>This Loop Header: Depth=1
                                        ;     Child Loop BB0_6 Depth 2
                                        ;     Child Loop BB0_14 Depth 2
	;; [unrolled: 1-line block ×11, first 2 shown]
	v_cmp_gt_u64_e32 vcc, 56, v[4:5]
	v_add_co_u32_e64 v14, s[4:5], 8, v6
	v_cndmask_b32_e32 v30, 0, v5, vcc
	v_cndmask_b32_e32 v29, 56, v4, vcc
	v_cmp_gt_u64_e32 vcc, 8, v[4:5]
	v_addc_co_u32_e64 v15, s[4:5], 0, v7, s[4:5]
	s_and_saveexec_b64 s[4:5], vcc
	s_xor_b64 s[4:5], exec, s[4:5]
	s_cbranch_execz .LBB0_9
; %bb.4:                                ;   in Loop: Header=BB0_3 Depth=1
	v_mov_b32_e32 v2, 0
	v_cmp_ne_u64_e32 vcc, 0, v[4:5]
	v_mov_b32_e32 v3, 0
	s_and_saveexec_b64 s[14:15], vcc
	s_cbranch_execz .LBB0_8
; %bb.5:                                ;   in Loop: Header=BB0_3 Depth=1
	v_lshlrev_b64 v[8:9], 3, v[29:30]
	v_mov_b32_e32 v2, 0
	v_mov_b32_e32 v13, v7
	s_mov_b64 s[16:17], 0
	v_mov_b32_e32 v3, 0
	v_mov_b32_e32 v12, v6
	s_mov_b64 s[18:19], 0
.LBB0_6:                                ;   Parent Loop BB0_3 Depth=1
                                        ; =>  This Inner Loop Header: Depth=2
	global_load_ubyte v9, v[12:13], off
	v_mov_b32_e32 v15, s22
	v_add_co_u32_e32 v12, vcc, 1, v12
	v_addc_co_u32_e32 v13, vcc, 0, v13, vcc
	s_waitcnt vmcnt(0)
	v_and_b32_e32 v14, 0xffff, v9
	v_lshlrev_b64 v[14:15], s18, v[14:15]
	s_add_u32 s18, s18, 8
	s_addc_u32 s19, s19, 0
	v_cmp_eq_u32_e32 vcc, s18, v8
	v_or_b32_e32 v3, v15, v3
	s_or_b64 s[16:17], vcc, s[16:17]
	v_or_b32_e32 v2, v14, v2
	s_andn2_b64 exec, exec, s[16:17]
	s_cbranch_execnz .LBB0_6
; %bb.7:                                ;   in Loop: Header=BB0_3 Depth=1
	s_or_b64 exec, exec, s[16:17]
.LBB0_8:                                ;   in Loop: Header=BB0_3 Depth=1
	s_or_b64 exec, exec, s[14:15]
	v_mov_b32_e32 v15, v7
	v_mov_b32_e32 v14, v6
.LBB0_9:                                ;   in Loop: Header=BB0_3 Depth=1
	s_or_saveexec_b64 s[4:5], s[4:5]
	v_mov_b32_e32 v16, 0
	s_xor_b64 exec, exec, s[4:5]
	s_cbranch_execz .LBB0_11
; %bb.10:                               ;   in Loop: Header=BB0_3 Depth=1
	global_load_dwordx2 v[2:3], v[6:7], off
	v_add_u32_e32 v16, -8, v29
.LBB0_11:                               ;   in Loop: Header=BB0_3 Depth=1
	s_or_b64 exec, exec, s[4:5]
	v_add_co_u32_e64 v8, s[4:5], 8, v14
	v_cmp_gt_u32_e32 vcc, 8, v16
	v_addc_co_u32_e64 v9, s[4:5], 0, v15, s[4:5]
                                        ; implicit-def: $vgpr12_vgpr13
	s_and_saveexec_b64 s[4:5], vcc
	s_xor_b64 s[4:5], exec, s[4:5]
	s_cbranch_execz .LBB0_17
; %bb.12:                               ;   in Loop: Header=BB0_3 Depth=1
	v_mov_b32_e32 v12, 0
	v_mov_b32_e32 v13, 0
	v_cmp_ne_u32_e32 vcc, 0, v16
	s_and_saveexec_b64 s[14:15], vcc
	s_cbranch_execz .LBB0_16
; %bb.13:                               ;   in Loop: Header=BB0_3 Depth=1
	v_mov_b32_e32 v12, 0
	s_mov_b64 s[16:17], 0
	v_mov_b32_e32 v13, 0
	s_mov_b64 s[18:19], 0
	s_mov_b64 s[20:21], 0
.LBB0_14:                               ;   Parent Loop BB0_3 Depth=1
                                        ; =>  This Inner Loop Header: Depth=2
	v_mov_b32_e32 v9, s21
	v_add_co_u32_e32 v8, vcc, s20, v14
	v_addc_co_u32_e32 v9, vcc, v15, v9, vcc
	global_load_ubyte v8, v[8:9], off
	s_add_u32 s20, s20, 1
	v_mov_b32_e32 v9, s22
	s_addc_u32 s21, s21, 0
	v_cmp_eq_u32_e32 vcc, s20, v16
	s_waitcnt vmcnt(0)
	v_and_b32_e32 v8, 0xffff, v8
	v_lshlrev_b64 v[8:9], s18, v[8:9]
	s_add_u32 s18, s18, 8
	s_addc_u32 s19, s19, 0
	v_or_b32_e32 v13, v9, v13
	s_or_b64 s[16:17], vcc, s[16:17]
	v_or_b32_e32 v12, v8, v12
	s_andn2_b64 exec, exec, s[16:17]
	s_cbranch_execnz .LBB0_14
; %bb.15:                               ;   in Loop: Header=BB0_3 Depth=1
	s_or_b64 exec, exec, s[16:17]
.LBB0_16:                               ;   in Loop: Header=BB0_3 Depth=1
	s_or_b64 exec, exec, s[14:15]
	v_mov_b32_e32 v8, v14
	v_mov_b32_e32 v9, v15
                                        ; implicit-def: $vgpr16
.LBB0_17:                               ;   in Loop: Header=BB0_3 Depth=1
	s_or_saveexec_b64 s[4:5], s[4:5]
	v_mov_b32_e32 v17, 0
	s_xor_b64 exec, exec, s[4:5]
	s_cbranch_execz .LBB0_19
; %bb.18:                               ;   in Loop: Header=BB0_3 Depth=1
	global_load_dwordx2 v[12:13], v[14:15], off
	v_add_u32_e32 v17, -8, v16
.LBB0_19:                               ;   in Loop: Header=BB0_3 Depth=1
	s_or_b64 exec, exec, s[4:5]
	v_add_co_u32_e64 v18, s[4:5], 8, v8
	v_cmp_gt_u32_e32 vcc, 8, v17
	v_addc_co_u32_e64 v19, s[4:5], 0, v9, s[4:5]
	s_and_saveexec_b64 s[4:5], vcc
	s_xor_b64 s[4:5], exec, s[4:5]
	s_cbranch_execz .LBB0_25
; %bb.20:                               ;   in Loop: Header=BB0_3 Depth=1
	v_mov_b32_e32 v14, 0
	v_mov_b32_e32 v15, 0
	v_cmp_ne_u32_e32 vcc, 0, v17
	s_and_saveexec_b64 s[14:15], vcc
	s_cbranch_execz .LBB0_24
; %bb.21:                               ;   in Loop: Header=BB0_3 Depth=1
	v_mov_b32_e32 v14, 0
	s_mov_b64 s[16:17], 0
	v_mov_b32_e32 v15, 0
	s_mov_b64 s[18:19], 0
	s_mov_b64 s[20:21], 0
.LBB0_22:                               ;   Parent Loop BB0_3 Depth=1
                                        ; =>  This Inner Loop Header: Depth=2
	v_mov_b32_e32 v16, s21
	v_add_co_u32_e32 v18, vcc, s20, v8
	v_addc_co_u32_e32 v19, vcc, v9, v16, vcc
	global_load_ubyte v16, v[18:19], off
	s_add_u32 s20, s20, 1
	v_mov_b32_e32 v19, s22
	s_addc_u32 s21, s21, 0
	v_cmp_eq_u32_e32 vcc, s20, v17
	s_waitcnt vmcnt(0)
	v_and_b32_e32 v18, 0xffff, v16
	v_lshlrev_b64 v[18:19], s18, v[18:19]
	s_add_u32 s18, s18, 8
	s_addc_u32 s19, s19, 0
	v_or_b32_e32 v15, v19, v15
	s_or_b64 s[16:17], vcc, s[16:17]
	v_or_b32_e32 v14, v18, v14
	s_andn2_b64 exec, exec, s[16:17]
	s_cbranch_execnz .LBB0_22
; %bb.23:                               ;   in Loop: Header=BB0_3 Depth=1
	s_or_b64 exec, exec, s[16:17]
.LBB0_24:                               ;   in Loop: Header=BB0_3 Depth=1
	s_or_b64 exec, exec, s[14:15]
	v_mov_b32_e32 v19, v9
	v_mov_b32_e32 v18, v8
                                        ; implicit-def: $vgpr17
.LBB0_25:                               ;   in Loop: Header=BB0_3 Depth=1
	s_or_saveexec_b64 s[4:5], s[4:5]
	v_mov_b32_e32 v20, 0
	s_xor_b64 exec, exec, s[4:5]
	s_cbranch_execz .LBB0_27
; %bb.26:                               ;   in Loop: Header=BB0_3 Depth=1
	global_load_dwordx2 v[14:15], v[8:9], off
	v_add_u32_e32 v20, -8, v17
.LBB0_27:                               ;   in Loop: Header=BB0_3 Depth=1
	s_or_b64 exec, exec, s[4:5]
	v_add_co_u32_e64 v8, s[4:5], 8, v18
	v_cmp_gt_u32_e32 vcc, 8, v20
	v_addc_co_u32_e64 v9, s[4:5], 0, v19, s[4:5]
                                        ; implicit-def: $vgpr16_vgpr17
	s_and_saveexec_b64 s[4:5], vcc
	s_xor_b64 s[4:5], exec, s[4:5]
	s_cbranch_execz .LBB0_33
; %bb.28:                               ;   in Loop: Header=BB0_3 Depth=1
	v_mov_b32_e32 v16, 0
	v_mov_b32_e32 v17, 0
	v_cmp_ne_u32_e32 vcc, 0, v20
	s_and_saveexec_b64 s[14:15], vcc
	s_cbranch_execz .LBB0_32
; %bb.29:                               ;   in Loop: Header=BB0_3 Depth=1
	v_mov_b32_e32 v16, 0
	s_mov_b64 s[16:17], 0
	v_mov_b32_e32 v17, 0
	s_mov_b64 s[18:19], 0
	s_mov_b64 s[20:21], 0
.LBB0_30:                               ;   Parent Loop BB0_3 Depth=1
                                        ; =>  This Inner Loop Header: Depth=2
	v_mov_b32_e32 v9, s21
	v_add_co_u32_e32 v8, vcc, s20, v18
	v_addc_co_u32_e32 v9, vcc, v19, v9, vcc
	global_load_ubyte v8, v[8:9], off
	s_add_u32 s20, s20, 1
	v_mov_b32_e32 v9, s22
	s_addc_u32 s21, s21, 0
	v_cmp_eq_u32_e32 vcc, s20, v20
	s_waitcnt vmcnt(0)
	v_and_b32_e32 v8, 0xffff, v8
	v_lshlrev_b64 v[8:9], s18, v[8:9]
	s_add_u32 s18, s18, 8
	s_addc_u32 s19, s19, 0
	v_or_b32_e32 v17, v9, v17
	s_or_b64 s[16:17], vcc, s[16:17]
	v_or_b32_e32 v16, v8, v16
	s_andn2_b64 exec, exec, s[16:17]
	s_cbranch_execnz .LBB0_30
; %bb.31:                               ;   in Loop: Header=BB0_3 Depth=1
	s_or_b64 exec, exec, s[16:17]
.LBB0_32:                               ;   in Loop: Header=BB0_3 Depth=1
	s_or_b64 exec, exec, s[14:15]
	v_mov_b32_e32 v8, v18
	v_mov_b32_e32 v9, v19
                                        ; implicit-def: $vgpr20
.LBB0_33:                               ;   in Loop: Header=BB0_3 Depth=1
	s_or_saveexec_b64 s[4:5], s[4:5]
	v_mov_b32_e32 v21, 0
	s_xor_b64 exec, exec, s[4:5]
	s_cbranch_execz .LBB0_35
; %bb.34:                               ;   in Loop: Header=BB0_3 Depth=1
	global_load_dwordx2 v[16:17], v[18:19], off
	v_add_u32_e32 v21, -8, v20
.LBB0_35:                               ;   in Loop: Header=BB0_3 Depth=1
	s_or_b64 exec, exec, s[4:5]
	v_add_co_u32_e64 v22, s[4:5], 8, v8
	v_cmp_gt_u32_e32 vcc, 8, v21
	v_addc_co_u32_e64 v23, s[4:5], 0, v9, s[4:5]
	s_and_saveexec_b64 s[4:5], vcc
	s_xor_b64 s[4:5], exec, s[4:5]
	s_cbranch_execz .LBB0_41
; %bb.36:                               ;   in Loop: Header=BB0_3 Depth=1
	v_mov_b32_e32 v18, 0
	v_mov_b32_e32 v19, 0
	v_cmp_ne_u32_e32 vcc, 0, v21
	s_and_saveexec_b64 s[14:15], vcc
	s_cbranch_execz .LBB0_40
; %bb.37:                               ;   in Loop: Header=BB0_3 Depth=1
	v_mov_b32_e32 v18, 0
	s_mov_b64 s[16:17], 0
	v_mov_b32_e32 v19, 0
	s_mov_b64 s[18:19], 0
	s_mov_b64 s[20:21], 0
.LBB0_38:                               ;   Parent Loop BB0_3 Depth=1
                                        ; =>  This Inner Loop Header: Depth=2
	v_mov_b32_e32 v20, s21
	v_add_co_u32_e32 v22, vcc, s20, v8
	v_addc_co_u32_e32 v23, vcc, v9, v20, vcc
	global_load_ubyte v20, v[22:23], off
	s_add_u32 s20, s20, 1
	v_mov_b32_e32 v23, s22
	s_addc_u32 s21, s21, 0
	v_cmp_eq_u32_e32 vcc, s20, v21
	s_waitcnt vmcnt(0)
	v_and_b32_e32 v22, 0xffff, v20
	v_lshlrev_b64 v[22:23], s18, v[22:23]
	s_add_u32 s18, s18, 8
	s_addc_u32 s19, s19, 0
	v_or_b32_e32 v19, v23, v19
	s_or_b64 s[16:17], vcc, s[16:17]
	v_or_b32_e32 v18, v22, v18
	s_andn2_b64 exec, exec, s[16:17]
	s_cbranch_execnz .LBB0_38
; %bb.39:                               ;   in Loop: Header=BB0_3 Depth=1
	s_or_b64 exec, exec, s[16:17]
.LBB0_40:                               ;   in Loop: Header=BB0_3 Depth=1
	s_or_b64 exec, exec, s[14:15]
	v_mov_b32_e32 v23, v9
	v_mov_b32_e32 v22, v8
                                        ; implicit-def: $vgpr21
.LBB0_41:                               ;   in Loop: Header=BB0_3 Depth=1
	s_or_saveexec_b64 s[4:5], s[4:5]
	v_mov_b32_e32 v24, 0
	s_xor_b64 exec, exec, s[4:5]
	s_cbranch_execz .LBB0_43
; %bb.42:                               ;   in Loop: Header=BB0_3 Depth=1
	global_load_dwordx2 v[18:19], v[8:9], off
	v_add_u32_e32 v24, -8, v21
.LBB0_43:                               ;   in Loop: Header=BB0_3 Depth=1
	s_or_b64 exec, exec, s[4:5]
	v_add_co_u32_e64 v8, s[4:5], 8, v22
	v_cmp_gt_u32_e32 vcc, 8, v24
	v_addc_co_u32_e64 v9, s[4:5], 0, v23, s[4:5]
                                        ; implicit-def: $vgpr20_vgpr21
	s_and_saveexec_b64 s[4:5], vcc
	s_xor_b64 s[4:5], exec, s[4:5]
	s_cbranch_execz .LBB0_49
; %bb.44:                               ;   in Loop: Header=BB0_3 Depth=1
	v_mov_b32_e32 v20, 0
	v_mov_b32_e32 v21, 0
	v_cmp_ne_u32_e32 vcc, 0, v24
	s_and_saveexec_b64 s[14:15], vcc
	s_cbranch_execz .LBB0_48
; %bb.45:                               ;   in Loop: Header=BB0_3 Depth=1
	v_mov_b32_e32 v20, 0
	s_mov_b64 s[16:17], 0
	v_mov_b32_e32 v21, 0
	s_mov_b64 s[18:19], 0
	s_mov_b64 s[20:21], 0
.LBB0_46:                               ;   Parent Loop BB0_3 Depth=1
                                        ; =>  This Inner Loop Header: Depth=2
	v_mov_b32_e32 v9, s21
	v_add_co_u32_e32 v8, vcc, s20, v22
	v_addc_co_u32_e32 v9, vcc, v23, v9, vcc
	global_load_ubyte v8, v[8:9], off
	s_add_u32 s20, s20, 1
	v_mov_b32_e32 v9, s22
	s_addc_u32 s21, s21, 0
	v_cmp_eq_u32_e32 vcc, s20, v24
	s_waitcnt vmcnt(0)
	v_and_b32_e32 v8, 0xffff, v8
	v_lshlrev_b64 v[8:9], s18, v[8:9]
	s_add_u32 s18, s18, 8
	s_addc_u32 s19, s19, 0
	v_or_b32_e32 v21, v9, v21
	s_or_b64 s[16:17], vcc, s[16:17]
	v_or_b32_e32 v20, v8, v20
	s_andn2_b64 exec, exec, s[16:17]
	s_cbranch_execnz .LBB0_46
; %bb.47:                               ;   in Loop: Header=BB0_3 Depth=1
	s_or_b64 exec, exec, s[16:17]
.LBB0_48:                               ;   in Loop: Header=BB0_3 Depth=1
	s_or_b64 exec, exec, s[14:15]
	v_mov_b32_e32 v8, v22
	v_mov_b32_e32 v9, v23
                                        ; implicit-def: $vgpr24
.LBB0_49:                               ;   in Loop: Header=BB0_3 Depth=1
	s_or_saveexec_b64 s[4:5], s[4:5]
	v_mov_b32_e32 v25, 0
	s_xor_b64 exec, exec, s[4:5]
	s_cbranch_execz .LBB0_51
; %bb.50:                               ;   in Loop: Header=BB0_3 Depth=1
	global_load_dwordx2 v[20:21], v[22:23], off
	v_add_u32_e32 v25, -8, v24
.LBB0_51:                               ;   in Loop: Header=BB0_3 Depth=1
	s_or_b64 exec, exec, s[4:5]
	v_cmp_gt_u32_e32 vcc, 8, v25
	s_and_saveexec_b64 s[4:5], vcc
	s_xor_b64 s[4:5], exec, s[4:5]
	s_cbranch_execz .LBB0_57
; %bb.52:                               ;   in Loop: Header=BB0_3 Depth=1
	v_mov_b32_e32 v22, 0
	v_mov_b32_e32 v23, 0
	v_cmp_ne_u32_e32 vcc, 0, v25
	s_and_saveexec_b64 s[14:15], vcc
	s_cbranch_execz .LBB0_56
; %bb.53:                               ;   in Loop: Header=BB0_3 Depth=1
	v_mov_b32_e32 v22, 0
	s_mov_b64 s[16:17], 0
	v_mov_b32_e32 v23, 0
	s_mov_b64 s[18:19], 0
.LBB0_54:                               ;   Parent Loop BB0_3 Depth=1
                                        ; =>  This Inner Loop Header: Depth=2
	global_load_ubyte v24, v[8:9], off
	v_mov_b32_e32 v27, s22
	v_add_co_u32_e32 v8, vcc, 1, v8
	v_add_u32_e32 v25, -1, v25
	v_addc_co_u32_e32 v9, vcc, 0, v9, vcc
	v_cmp_eq_u32_e32 vcc, 0, v25
	s_waitcnt vmcnt(0)
	v_and_b32_e32 v26, 0xffff, v24
	v_lshlrev_b64 v[26:27], s18, v[26:27]
	s_add_u32 s18, s18, 8
	s_addc_u32 s19, s19, 0
	v_or_b32_e32 v23, v27, v23
	s_or_b64 s[16:17], vcc, s[16:17]
	v_or_b32_e32 v22, v26, v22
	s_andn2_b64 exec, exec, s[16:17]
	s_cbranch_execnz .LBB0_54
; %bb.55:                               ;   in Loop: Header=BB0_3 Depth=1
	s_or_b64 exec, exec, s[16:17]
.LBB0_56:                               ;   in Loop: Header=BB0_3 Depth=1
	s_or_b64 exec, exec, s[14:15]
                                        ; implicit-def: $vgpr8_vgpr9
.LBB0_57:                               ;   in Loop: Header=BB0_3 Depth=1
	s_andn2_saveexec_b64 s[4:5], s[4:5]
	s_cbranch_execz .LBB0_59
; %bb.58:                               ;   in Loop: Header=BB0_3 Depth=1
	global_load_dwordx2 v[22:23], v[8:9], off
.LBB0_59:                               ;   in Loop: Header=BB0_3 Depth=1
	s_or_b64 exec, exec, s[4:5]
	v_readfirstlane_b32 s4, v34
	v_mov_b32_e32 v8, 0
	v_mov_b32_e32 v9, 0
	v_cmp_eq_u32_e64 s[4:5], s4, v34
	s_and_saveexec_b64 s[14:15], s[4:5]
	s_cbranch_execz .LBB0_65
; %bb.60:                               ;   in Loop: Header=BB0_3 Depth=1
	s_waitcnt lgkmcnt(0)
	global_load_dwordx2 v[26:27], v28, s[12:13] offset:24 glc
	s_waitcnt vmcnt(0)
	buffer_wbinvl1_vol
	global_load_dwordx2 v[8:9], v28, s[12:13] offset:40
	global_load_dwordx2 v[24:25], v28, s[12:13]
	s_waitcnt vmcnt(1)
	v_and_b32_e32 v8, v8, v26
	v_and_b32_e32 v9, v9, v27
	v_mul_lo_u32 v9, v9, 24
	v_mul_hi_u32 v31, v8, 24
	v_mul_lo_u32 v8, v8, 24
	v_add_u32_e32 v9, v31, v9
	s_waitcnt vmcnt(0)
	v_add_co_u32_e32 v8, vcc, v24, v8
	v_addc_co_u32_e32 v9, vcc, v25, v9, vcc
	global_load_dwordx2 v[24:25], v[8:9], off glc
	s_waitcnt vmcnt(0)
	global_atomic_cmpswap_x2 v[8:9], v28, v[24:27], s[12:13] offset:24 glc
	s_waitcnt vmcnt(0)
	buffer_wbinvl1_vol
	v_cmp_ne_u64_e32 vcc, v[8:9], v[26:27]
	s_and_saveexec_b64 s[16:17], vcc
	s_cbranch_execz .LBB0_64
; %bb.61:                               ;   in Loop: Header=BB0_3 Depth=1
	s_mov_b64 s[18:19], 0
.LBB0_62:                               ;   Parent Loop BB0_3 Depth=1
                                        ; =>  This Inner Loop Header: Depth=2
	s_sleep 1
	global_load_dwordx2 v[24:25], v28, s[12:13] offset:40
	global_load_dwordx2 v[31:32], v28, s[12:13]
	v_mov_b32_e32 v27, v9
	v_mov_b32_e32 v26, v8
	s_waitcnt vmcnt(1)
	v_and_b32_e32 v8, v24, v26
	s_waitcnt vmcnt(0)
	v_mad_u64_u32 v[8:9], s[20:21], v8, 24, v[31:32]
	v_and_b32_e32 v24, v25, v27
	v_mad_u64_u32 v[24:25], s[20:21], v24, 24, v[9:10]
	v_mov_b32_e32 v9, v24
	global_load_dwordx2 v[24:25], v[8:9], off glc
	s_waitcnt vmcnt(0)
	global_atomic_cmpswap_x2 v[8:9], v28, v[24:27], s[12:13] offset:24 glc
	s_waitcnt vmcnt(0)
	buffer_wbinvl1_vol
	v_cmp_eq_u64_e32 vcc, v[8:9], v[26:27]
	s_or_b64 s[18:19], vcc, s[18:19]
	s_andn2_b64 exec, exec, s[18:19]
	s_cbranch_execnz .LBB0_62
; %bb.63:                               ;   in Loop: Header=BB0_3 Depth=1
	s_or_b64 exec, exec, s[18:19]
.LBB0_64:                               ;   in Loop: Header=BB0_3 Depth=1
	s_or_b64 exec, exec, s[16:17]
.LBB0_65:                               ;   in Loop: Header=BB0_3 Depth=1
	s_or_b64 exec, exec, s[14:15]
	s_waitcnt lgkmcnt(0)
	global_load_dwordx2 v[31:32], v28, s[12:13] offset:40
	global_load_dwordx4 v[24:27], v28, s[12:13]
	v_readfirstlane_b32 s15, v9
	v_readfirstlane_b32 s14, v8
	s_mov_b64 s[16:17], exec
	s_waitcnt vmcnt(1)
	v_readfirstlane_b32 s18, v31
	v_readfirstlane_b32 s19, v32
	s_and_b64 s[18:19], s[18:19], s[14:15]
	s_mul_i32 s20, s19, 24
	s_mul_hi_u32 s21, s18, 24
	s_mul_i32 s24, s18, 24
	s_add_i32 s20, s21, s20
	v_mov_b32_e32 v8, s20
	s_waitcnt vmcnt(0)
	v_add_co_u32_e32 v31, vcc, s24, v24
	v_addc_co_u32_e32 v32, vcc, v25, v8, vcc
	s_and_saveexec_b64 s[20:21], s[4:5]
	s_cbranch_execz .LBB0_67
; %bb.66:                               ;   in Loop: Header=BB0_3 Depth=1
	v_mov_b32_e32 v8, s16
	v_mov_b32_e32 v9, s17
	global_store_dwordx4 v[31:32], v[8:11], off offset:8
.LBB0_67:                               ;   in Loop: Header=BB0_3 Depth=1
	s_or_b64 exec, exec, s[20:21]
	s_lshl_b64 s[16:17], s[18:19], 12
	v_mov_b32_e32 v8, s17
	v_add_co_u32_e32 v26, vcc, s16, v26
	v_addc_co_u32_e32 v35, vcc, v27, v8, vcc
	v_cmp_gt_u64_e32 vcc, 57, v[4:5]
	v_and_b32_e32 v0, 0xffffff1f, v0
	v_cndmask_b32_e32 v8, 0, v33, vcc
	v_lshl_add_u32 v9, v29, 2, 28
	v_or_b32_e32 v0, v0, v8
	v_and_or_b32 v0, v9, s23, v0
	v_lshlrev_b32_e32 v36, 6, v34
	v_readfirstlane_b32 s16, v26
	v_readfirstlane_b32 s17, v35
	s_nop 4
	global_store_dwordx4 v36, v[0:3], s[16:17]
	global_store_dwordx4 v36, v[12:15], s[16:17] offset:16
	global_store_dwordx4 v36, v[16:19], s[16:17] offset:32
	global_store_dwordx4 v36, v[20:23], s[16:17] offset:48
	s_and_saveexec_b64 s[16:17], s[4:5]
	s_cbranch_execz .LBB0_75
; %bb.68:                               ;   in Loop: Header=BB0_3 Depth=1
	global_load_dwordx2 v[14:15], v28, s[12:13] offset:32 glc
	global_load_dwordx2 v[0:1], v28, s[12:13] offset:40
	v_mov_b32_e32 v12, s14
	v_mov_b32_e32 v13, s15
	s_waitcnt vmcnt(0)
	v_readfirstlane_b32 s18, v0
	v_readfirstlane_b32 s19, v1
	s_and_b64 s[18:19], s[18:19], s[14:15]
	s_mul_i32 s19, s19, 24
	s_mul_hi_u32 s20, s18, 24
	s_mul_i32 s18, s18, 24
	s_add_i32 s19, s20, s19
	v_mov_b32_e32 v0, s19
	v_add_co_u32_e32 v8, vcc, s18, v24
	v_addc_co_u32_e32 v9, vcc, v25, v0, vcc
	global_store_dwordx2 v[8:9], v[14:15], off
	s_waitcnt vmcnt(0)
	global_atomic_cmpswap_x2 v[2:3], v28, v[12:15], s[12:13] offset:32 glc
	s_waitcnt vmcnt(0)
	v_cmp_ne_u64_e32 vcc, v[2:3], v[14:15]
	s_and_saveexec_b64 s[18:19], vcc
	s_cbranch_execz .LBB0_71
; %bb.69:                               ;   in Loop: Header=BB0_3 Depth=1
	s_mov_b64 s[20:21], 0
.LBB0_70:                               ;   Parent Loop BB0_3 Depth=1
                                        ; =>  This Inner Loop Header: Depth=2
	s_sleep 1
	global_store_dwordx2 v[8:9], v[2:3], off
	v_mov_b32_e32 v0, s14
	v_mov_b32_e32 v1, s15
	s_waitcnt vmcnt(0)
	global_atomic_cmpswap_x2 v[0:1], v28, v[0:3], s[12:13] offset:32 glc
	s_waitcnt vmcnt(0)
	v_cmp_eq_u64_e32 vcc, v[0:1], v[2:3]
	v_mov_b32_e32 v3, v1
	s_or_b64 s[20:21], vcc, s[20:21]
	v_mov_b32_e32 v2, v0
	s_andn2_b64 exec, exec, s[20:21]
	s_cbranch_execnz .LBB0_70
.LBB0_71:                               ;   in Loop: Header=BB0_3 Depth=1
	s_or_b64 exec, exec, s[18:19]
	global_load_dwordx2 v[0:1], v28, s[12:13] offset:16
	s_mov_b64 s[20:21], exec
	v_mbcnt_lo_u32_b32 v2, s20, 0
	v_mbcnt_hi_u32_b32 v2, s21, v2
	v_cmp_eq_u32_e32 vcc, 0, v2
	s_and_saveexec_b64 s[18:19], vcc
	s_cbranch_execz .LBB0_73
; %bb.72:                               ;   in Loop: Header=BB0_3 Depth=1
	s_bcnt1_i32_b64 s20, s[20:21]
	v_mov_b32_e32 v27, s20
	s_waitcnt vmcnt(0)
	global_atomic_add_x2 v[0:1], v[27:28], off offset:8
.LBB0_73:                               ;   in Loop: Header=BB0_3 Depth=1
	s_or_b64 exec, exec, s[18:19]
	s_waitcnt vmcnt(0)
	global_load_dwordx2 v[2:3], v[0:1], off offset:16
	s_waitcnt vmcnt(0)
	v_cmp_eq_u64_e32 vcc, 0, v[2:3]
	s_cbranch_vccnz .LBB0_75
; %bb.74:                               ;   in Loop: Header=BB0_3 Depth=1
	global_load_dword v27, v[0:1], off offset:24
	s_waitcnt vmcnt(0)
	v_readfirstlane_b32 s18, v27
	s_and_b32 m0, s18, 0xffffff
	global_store_dwordx2 v[2:3], v[27:28], off
	s_sendmsg sendmsg(MSG_INTERRUPT)
.LBB0_75:                               ;   in Loop: Header=BB0_3 Depth=1
	s_or_b64 exec, exec, s[16:17]
	v_add_co_u32_e32 v0, vcc, v26, v36
	v_addc_co_u32_e32 v1, vcc, 0, v35, vcc
	s_branch .LBB0_79
.LBB0_76:                               ;   in Loop: Header=BB0_79 Depth=2
	s_or_b64 exec, exec, s[16:17]
	v_readfirstlane_b32 s16, v2
	s_cmp_eq_u32 s16, 0
	s_cbranch_scc1 .LBB0_78
; %bb.77:                               ;   in Loop: Header=BB0_79 Depth=2
	s_sleep 1
	s_cbranch_execnz .LBB0_79
	s_branch .LBB0_81
.LBB0_78:                               ;   in Loop: Header=BB0_3 Depth=1
	s_branch .LBB0_81
.LBB0_79:                               ;   Parent Loop BB0_3 Depth=1
                                        ; =>  This Inner Loop Header: Depth=2
	v_mov_b32_e32 v2, 1
	s_and_saveexec_b64 s[16:17], s[4:5]
	s_cbranch_execz .LBB0_76
; %bb.80:                               ;   in Loop: Header=BB0_79 Depth=2
	global_load_dword v2, v[31:32], off offset:20 glc
	s_waitcnt vmcnt(0)
	buffer_wbinvl1_vol
	v_and_b32_e32 v2, 1, v2
	s_branch .LBB0_76
.LBB0_81:                               ;   in Loop: Header=BB0_3 Depth=1
	global_load_dwordx2 v[0:1], v[0:1], off
	s_and_saveexec_b64 s[16:17], s[4:5]
	s_cbranch_execz .LBB0_2
; %bb.82:                               ;   in Loop: Header=BB0_3 Depth=1
	global_load_dwordx2 v[2:3], v28, s[12:13] offset:40
	global_load_dwordx2 v[16:17], v28, s[12:13] offset:24 glc
	global_load_dwordx2 v[8:9], v28, s[12:13]
	s_waitcnt vmcnt(2)
	v_readfirstlane_b32 s18, v2
	v_readfirstlane_b32 s19, v3
	s_add_u32 s20, s18, 1
	s_addc_u32 s21, s19, 0
	s_add_u32 s4, s20, s14
	s_addc_u32 s5, s21, s15
	s_cmp_eq_u64 s[4:5], 0
	s_cselect_b32 s5, s21, s5
	s_cselect_b32 s4, s20, s4
	s_and_b64 s[14:15], s[4:5], s[18:19]
	s_mul_i32 s15, s15, 24
	s_mul_hi_u32 s18, s14, 24
	s_mul_i32 s14, s14, 24
	s_add_i32 s15, s18, s15
	v_mov_b32_e32 v3, s15
	s_waitcnt vmcnt(0)
	v_add_co_u32_e32 v2, vcc, s14, v8
	v_addc_co_u32_e32 v3, vcc, v9, v3, vcc
	v_mov_b32_e32 v14, s4
	global_store_dwordx2 v[2:3], v[16:17], off
	v_mov_b32_e32 v15, s5
	s_waitcnt vmcnt(0)
	global_atomic_cmpswap_x2 v[14:15], v28, v[14:17], s[12:13] offset:24 glc
	s_waitcnt vmcnt(0)
	v_cmp_ne_u64_e32 vcc, v[14:15], v[16:17]
	s_and_b64 exec, exec, vcc
	s_cbranch_execz .LBB0_2
; %bb.83:                               ;   in Loop: Header=BB0_3 Depth=1
	s_mov_b64 s[14:15], 0
.LBB0_84:                               ;   Parent Loop BB0_3 Depth=1
                                        ; =>  This Inner Loop Header: Depth=2
	s_sleep 1
	global_store_dwordx2 v[2:3], v[14:15], off
	v_mov_b32_e32 v12, s4
	v_mov_b32_e32 v13, s5
	s_waitcnt vmcnt(0)
	global_atomic_cmpswap_x2 v[8:9], v28, v[12:15], s[12:13] offset:24 glc
	s_waitcnt vmcnt(0)
	v_cmp_eq_u64_e32 vcc, v[8:9], v[14:15]
	v_mov_b32_e32 v15, v9
	s_or_b64 s[14:15], vcc, s[14:15]
	v_mov_b32_e32 v14, v8
	s_andn2_b64 exec, exec, s[14:15]
	s_cbranch_execnz .LBB0_84
	s_branch .LBB0_2
.LBB0_85:
	s_or_b64 exec, exec, s[6:7]
                                        ; implicit-def: $vgpr3
                                        ; implicit-def: $vgpr2
.LBB0_86:
	s_andn2_saveexec_b64 s[6:7], s[10:11]
	s_cbranch_execz .LBB0_109
; %bb.87:
	s_load_dwordx2 s[8:9], s[8:9], 0x50
	v_mbcnt_hi_u32_b32 v10, -1, v2
	v_readfirstlane_b32 s4, v10
	v_mov_b32_e32 v8, 0
	v_mov_b32_e32 v9, 0
	v_cmp_eq_u32_e64 s[4:5], s4, v10
	s_and_saveexec_b64 s[10:11], s[4:5]
	s_cbranch_execz .LBB0_93
; %bb.88:
	s_waitcnt vmcnt(0)
	v_mov_b32_e32 v0, 0
	s_waitcnt lgkmcnt(0)
	global_load_dwordx2 v[6:7], v0, s[8:9] offset:24 glc
	s_waitcnt vmcnt(0)
	buffer_wbinvl1_vol
	global_load_dwordx2 v[4:5], v0, s[8:9] offset:40
	global_load_dwordx2 v[8:9], v0, s[8:9]
	s_waitcnt vmcnt(1)
	v_and_b32_e32 v2, v4, v6
	v_and_b32_e32 v4, v5, v7
	v_mul_lo_u32 v4, v4, 24
	v_mul_hi_u32 v5, v2, 24
	v_mul_lo_u32 v2, v2, 24
	v_add_u32_e32 v5, v5, v4
	s_waitcnt vmcnt(0)
	v_add_co_u32_e32 v4, vcc, v8, v2
	v_addc_co_u32_e32 v5, vcc, v9, v5, vcc
	global_load_dwordx2 v[4:5], v[4:5], off glc
	s_waitcnt vmcnt(0)
	global_atomic_cmpswap_x2 v[8:9], v0, v[4:7], s[8:9] offset:24 glc
	s_waitcnt vmcnt(0)
	buffer_wbinvl1_vol
	v_cmp_ne_u64_e32 vcc, v[8:9], v[6:7]
	s_and_saveexec_b64 s[12:13], vcc
	s_cbranch_execz .LBB0_92
; %bb.89:
	s_mov_b64 s[14:15], 0
.LBB0_90:                               ; =>This Inner Loop Header: Depth=1
	s_sleep 1
	global_load_dwordx2 v[4:5], v0, s[8:9] offset:40
	global_load_dwordx2 v[11:12], v0, s[8:9]
	v_mov_b32_e32 v6, v8
	v_mov_b32_e32 v7, v9
	s_waitcnt vmcnt(1)
	v_and_b32_e32 v2, v4, v6
	s_waitcnt vmcnt(0)
	v_mad_u64_u32 v[8:9], s[16:17], v2, 24, v[11:12]
	v_and_b32_e32 v4, v5, v7
	v_mov_b32_e32 v2, v9
	v_mad_u64_u32 v[4:5], s[16:17], v4, 24, v[2:3]
	v_mov_b32_e32 v9, v4
	global_load_dwordx2 v[4:5], v[8:9], off glc
	s_waitcnt vmcnt(0)
	global_atomic_cmpswap_x2 v[8:9], v0, v[4:7], s[8:9] offset:24 glc
	s_waitcnt vmcnt(0)
	buffer_wbinvl1_vol
	v_cmp_eq_u64_e32 vcc, v[8:9], v[6:7]
	s_or_b64 s[14:15], vcc, s[14:15]
	s_andn2_b64 exec, exec, s[14:15]
	s_cbranch_execnz .LBB0_90
; %bb.91:
	s_or_b64 exec, exec, s[14:15]
.LBB0_92:
	s_or_b64 exec, exec, s[12:13]
.LBB0_93:
	s_or_b64 exec, exec, s[10:11]
	v_mov_b32_e32 v2, 0
	s_waitcnt lgkmcnt(0)
	global_load_dwordx2 v[11:12], v2, s[8:9] offset:40
	global_load_dwordx4 v[4:7], v2, s[8:9]
	v_readfirstlane_b32 s11, v9
	v_readfirstlane_b32 s10, v8
	s_mov_b64 s[12:13], exec
	s_waitcnt vmcnt(1)
	v_readfirstlane_b32 s14, v11
	v_readfirstlane_b32 s15, v12
	s_and_b64 s[14:15], s[14:15], s[10:11]
	s_mul_i32 s16, s15, 24
	s_mul_hi_u32 s17, s14, 24
	s_mul_i32 s18, s14, 24
	s_add_i32 s16, s17, s16
	v_mov_b32_e32 v0, s16
	s_waitcnt vmcnt(0)
	v_add_co_u32_e32 v8, vcc, s18, v4
	v_addc_co_u32_e32 v9, vcc, v5, v0, vcc
	s_and_saveexec_b64 s[16:17], s[4:5]
	s_cbranch_execz .LBB0_95
; %bb.94:
	v_mov_b32_e32 v11, s12
	v_mov_b32_e32 v12, s13
	;; [unrolled: 1-line block ×4, first 2 shown]
	global_store_dwordx4 v[8:9], v[11:14], off offset:8
.LBB0_95:
	s_or_b64 exec, exec, s[16:17]
	s_lshl_b64 s[12:13], s[14:15], 12
	v_mov_b32_e32 v0, s13
	v_add_co_u32_e32 v11, vcc, s12, v6
	v_addc_co_u32_e32 v12, vcc, v7, v0, vcc
	s_movk_i32 s12, 0xff1f
	v_and_or_b32 v0, v3, s12, 32
	v_lshlrev_b32_e32 v10, 6, v10
	s_mov_b32 s12, 0
	v_mov_b32_e32 v3, v2
	v_readfirstlane_b32 s16, v11
	v_readfirstlane_b32 s17, v12
	v_add_co_u32_e32 v6, vcc, v11, v10
	s_mov_b32 s13, s12
	s_mov_b32 s14, s12
	;; [unrolled: 1-line block ×3, first 2 shown]
	s_nop 0
	global_store_dwordx4 v10, v[0:3], s[16:17]
	v_addc_co_u32_e32 v7, vcc, 0, v12, vcc
	v_mov_b32_e32 v0, s12
	v_mov_b32_e32 v1, s13
	;; [unrolled: 1-line block ×4, first 2 shown]
	global_store_dwordx4 v10, v[0:3], s[16:17] offset:16
	global_store_dwordx4 v10, v[0:3], s[16:17] offset:32
	;; [unrolled: 1-line block ×3, first 2 shown]
	s_and_saveexec_b64 s[12:13], s[4:5]
	s_cbranch_execz .LBB0_103
; %bb.96:
	v_mov_b32_e32 v10, 0
	global_load_dwordx2 v[13:14], v10, s[8:9] offset:32 glc
	global_load_dwordx2 v[0:1], v10, s[8:9] offset:40
	v_mov_b32_e32 v11, s10
	v_mov_b32_e32 v12, s11
	s_waitcnt vmcnt(0)
	v_and_b32_e32 v0, s10, v0
	v_and_b32_e32 v1, s11, v1
	v_mul_lo_u32 v1, v1, 24
	v_mul_hi_u32 v2, v0, 24
	v_mul_lo_u32 v0, v0, 24
	v_add_u32_e32 v1, v2, v1
	v_add_co_u32_e32 v4, vcc, v4, v0
	v_addc_co_u32_e32 v5, vcc, v5, v1, vcc
	global_store_dwordx2 v[4:5], v[13:14], off
	s_waitcnt vmcnt(0)
	global_atomic_cmpswap_x2 v[2:3], v10, v[11:14], s[8:9] offset:32 glc
	s_waitcnt vmcnt(0)
	v_cmp_ne_u64_e32 vcc, v[2:3], v[13:14]
	s_and_saveexec_b64 s[14:15], vcc
	s_cbranch_execz .LBB0_99
; %bb.97:
	s_mov_b64 s[16:17], 0
.LBB0_98:                               ; =>This Inner Loop Header: Depth=1
	s_sleep 1
	global_store_dwordx2 v[4:5], v[2:3], off
	v_mov_b32_e32 v0, s10
	v_mov_b32_e32 v1, s11
	s_waitcnt vmcnt(0)
	global_atomic_cmpswap_x2 v[0:1], v10, v[0:3], s[8:9] offset:32 glc
	s_waitcnt vmcnt(0)
	v_cmp_eq_u64_e32 vcc, v[0:1], v[2:3]
	v_mov_b32_e32 v3, v1
	s_or_b64 s[16:17], vcc, s[16:17]
	v_mov_b32_e32 v2, v0
	s_andn2_b64 exec, exec, s[16:17]
	s_cbranch_execnz .LBB0_98
.LBB0_99:
	s_or_b64 exec, exec, s[14:15]
	v_mov_b32_e32 v3, 0
	global_load_dwordx2 v[0:1], v3, s[8:9] offset:16
	s_mov_b64 s[14:15], exec
	v_mbcnt_lo_u32_b32 v2, s14, 0
	v_mbcnt_hi_u32_b32 v2, s15, v2
	v_cmp_eq_u32_e32 vcc, 0, v2
	s_and_saveexec_b64 s[16:17], vcc
	s_cbranch_execz .LBB0_101
; %bb.100:
	s_bcnt1_i32_b64 s14, s[14:15]
	v_mov_b32_e32 v2, s14
	s_waitcnt vmcnt(0)
	global_atomic_add_x2 v[0:1], v[2:3], off offset:8
.LBB0_101:
	s_or_b64 exec, exec, s[16:17]
	s_waitcnt vmcnt(0)
	global_load_dwordx2 v[2:3], v[0:1], off offset:16
	s_waitcnt vmcnt(0)
	v_cmp_eq_u64_e32 vcc, 0, v[2:3]
	s_cbranch_vccnz .LBB0_103
; %bb.102:
	global_load_dword v0, v[0:1], off offset:24
	v_mov_b32_e32 v1, 0
	s_waitcnt vmcnt(0)
	v_readfirstlane_b32 s14, v0
	s_and_b32 m0, s14, 0xffffff
	global_store_dwordx2 v[2:3], v[0:1], off
	s_sendmsg sendmsg(MSG_INTERRUPT)
.LBB0_103:
	s_or_b64 exec, exec, s[12:13]
	s_branch .LBB0_107
.LBB0_104:                              ;   in Loop: Header=BB0_107 Depth=1
	s_or_b64 exec, exec, s[12:13]
	v_readfirstlane_b32 s12, v0
	s_cmp_eq_u32 s12, 0
	s_cbranch_scc1 .LBB0_106
; %bb.105:                              ;   in Loop: Header=BB0_107 Depth=1
	s_sleep 1
	s_cbranch_execnz .LBB0_107
	s_branch .LBB0_110
.LBB0_106:
	s_branch .LBB0_110
.LBB0_107:                              ; =>This Inner Loop Header: Depth=1
	v_mov_b32_e32 v0, 1
	s_and_saveexec_b64 s[12:13], s[4:5]
	s_cbranch_execz .LBB0_104
; %bb.108:                              ;   in Loop: Header=BB0_107 Depth=1
	global_load_dword v0, v[8:9], off offset:20 glc
	s_waitcnt vmcnt(0)
	buffer_wbinvl1_vol
	v_and_b32_e32 v0, 1, v0
	s_branch .LBB0_104
.LBB0_109:
	s_or_b64 exec, exec, s[6:7]
	s_waitcnt vmcnt(0) lgkmcnt(0)
	s_setpc_b64 s[30:31]
.LBB0_110:
	global_load_dwordx2 v[0:1], v[6:7], off
	s_and_saveexec_b64 s[12:13], s[4:5]
	s_cbranch_execz .LBB0_113
; %bb.111:
	v_mov_b32_e32 v8, 0
	global_load_dwordx2 v[2:3], v8, s[8:9] offset:40
	global_load_dwordx2 v[11:12], v8, s[8:9] offset:24 glc
	global_load_dwordx2 v[4:5], v8, s[8:9]
	s_waitcnt vmcnt(2)
	v_readfirstlane_b32 s14, v2
	v_readfirstlane_b32 s15, v3
	s_add_u32 s16, s14, 1
	s_addc_u32 s17, s15, 0
	s_add_u32 s4, s16, s10
	s_addc_u32 s5, s17, s11
	s_cmp_eq_u64 s[4:5], 0
	s_cselect_b32 s5, s17, s5
	s_cselect_b32 s4, s16, s4
	s_and_b64 s[10:11], s[4:5], s[14:15]
	s_mul_i32 s11, s11, 24
	s_mul_hi_u32 s14, s10, 24
	s_mul_i32 s10, s10, 24
	s_add_i32 s11, s14, s11
	v_mov_b32_e32 v2, s11
	s_waitcnt vmcnt(0)
	v_add_co_u32_e32 v6, vcc, s10, v4
	v_addc_co_u32_e32 v7, vcc, v5, v2, vcc
	v_mov_b32_e32 v9, s4
	global_store_dwordx2 v[6:7], v[11:12], off
	v_mov_b32_e32 v10, s5
	s_waitcnt vmcnt(0)
	global_atomic_cmpswap_x2 v[4:5], v8, v[9:12], s[8:9] offset:24 glc
	s_mov_b64 s[10:11], 0
	s_waitcnt vmcnt(0)
	v_cmp_ne_u64_e32 vcc, v[4:5], v[11:12]
	s_and_b64 exec, exec, vcc
	s_cbranch_execz .LBB0_113
.LBB0_112:                              ; =>This Inner Loop Header: Depth=1
	s_sleep 1
	global_store_dwordx2 v[6:7], v[4:5], off
	v_mov_b32_e32 v2, s4
	v_mov_b32_e32 v3, s5
	s_waitcnt vmcnt(0)
	global_atomic_cmpswap_x2 v[2:3], v8, v[2:5], s[8:9] offset:24 glc
	s_waitcnt vmcnt(0)
	v_cmp_eq_u64_e32 vcc, v[2:3], v[4:5]
	v_mov_b32_e32 v5, v3
	s_or_b64 s[10:11], vcc, s[10:11]
	v_mov_b32_e32 v4, v2
	s_andn2_b64 exec, exec, s[10:11]
	s_cbranch_execnz .LBB0_112
.LBB0_113:
	s_or_b64 exec, exec, s[12:13]
	s_or_b64 exec, exec, s[6:7]
	s_waitcnt vmcnt(0) lgkmcnt(0)
	s_setpc_b64 s[30:31]
.Lfunc_end0:
	.size	__ockl_printf_append_string_n, .Lfunc_end0-__ockl_printf_append_string_n
                                        ; -- End function
	.set .L__ockl_printf_append_string_n.num_vgpr, 37
	.set .L__ockl_printf_append_string_n.num_agpr, 0
	.set .L__ockl_printf_append_string_n.numbered_sgpr, 32
	.set .L__ockl_printf_append_string_n.num_named_barrier, 0
	.set .L__ockl_printf_append_string_n.private_seg_size, 0
	.set .L__ockl_printf_append_string_n.uses_vcc, 1
	.set .L__ockl_printf_append_string_n.uses_flat_scratch, 0
	.set .L__ockl_printf_append_string_n.has_dyn_sized_stack, 0
	.set .L__ockl_printf_append_string_n.has_recursion, 0
	.set .L__ockl_printf_append_string_n.has_indirect_call, 0
	.section	.AMDGPU.csdata,"",@progbits
; Function info:
; codeLenInByte = 3868
; TotalNumSgprs: 36
; NumVgprs: 37
; ScratchSize: 0
; MemoryBound: 0
	.text
	.p2align	2                               ; -- Begin function __ockl_printf_append_args
	.type	__ockl_printf_append_args,@function
__ockl_printf_append_args:              ; @__ockl_printf_append_args
; %bb.0:
	s_waitcnt vmcnt(0) expcnt(0) lgkmcnt(0)
	s_load_dwordx2 s[6:7], s[8:9], 0x50
	v_mbcnt_lo_u32_b32 v5, -1, 0
	v_mbcnt_hi_u32_b32 v11, -1, v5
	v_readfirstlane_b32 s4, v11
	v_mov_b32_e32 v9, 0
	v_mov_b32_e32 v10, 0
	v_cmp_eq_u32_e64 s[4:5], s4, v11
	s_and_saveexec_b64 s[8:9], s[4:5]
	s_cbranch_execz .LBB1_6
; %bb.1:
	v_mov_b32_e32 v5, 0
	s_waitcnt lgkmcnt(0)
	global_load_dwordx2 v[14:15], v5, s[6:7] offset:24 glc
	s_waitcnt vmcnt(0)
	buffer_wbinvl1_vol
	global_load_dwordx2 v[6:7], v5, s[6:7] offset:40
	global_load_dwordx2 v[8:9], v5, s[6:7]
	s_waitcnt vmcnt(1)
	v_and_b32_e32 v6, v6, v14
	v_and_b32_e32 v7, v7, v15
	v_mul_lo_u32 v7, v7, 24
	v_mul_hi_u32 v10, v6, 24
	v_mul_lo_u32 v6, v6, 24
	v_add_u32_e32 v7, v10, v7
	s_waitcnt vmcnt(0)
	v_add_co_u32_e32 v6, vcc, v8, v6
	v_addc_co_u32_e32 v7, vcc, v9, v7, vcc
	global_load_dwordx2 v[12:13], v[6:7], off glc
	s_waitcnt vmcnt(0)
	global_atomic_cmpswap_x2 v[9:10], v5, v[12:15], s[6:7] offset:24 glc
	s_waitcnt vmcnt(0)
	buffer_wbinvl1_vol
	v_cmp_ne_u64_e32 vcc, v[9:10], v[14:15]
	s_and_saveexec_b64 s[10:11], vcc
	s_cbranch_execz .LBB1_5
; %bb.2:
	s_mov_b64 s[12:13], 0
.LBB1_3:                                ; =>This Inner Loop Header: Depth=1
	s_sleep 1
	global_load_dwordx2 v[6:7], v5, s[6:7] offset:40
	global_load_dwordx2 v[12:13], v5, s[6:7]
	v_mov_b32_e32 v15, v10
	v_mov_b32_e32 v14, v9
	s_waitcnt vmcnt(1)
	v_and_b32_e32 v6, v6, v14
	s_waitcnt vmcnt(0)
	v_mad_u64_u32 v[8:9], s[14:15], v6, 24, v[12:13]
	v_and_b32_e32 v7, v7, v15
	v_mov_b32_e32 v6, v9
	v_mad_u64_u32 v[6:7], s[14:15], v7, 24, v[6:7]
	v_mov_b32_e32 v9, v6
	global_load_dwordx2 v[12:13], v[8:9], off glc
	s_waitcnt vmcnt(0)
	global_atomic_cmpswap_x2 v[9:10], v5, v[12:15], s[6:7] offset:24 glc
	s_waitcnt vmcnt(0)
	buffer_wbinvl1_vol
	v_cmp_eq_u64_e32 vcc, v[9:10], v[14:15]
	s_or_b64 s[12:13], vcc, s[12:13]
	s_andn2_b64 exec, exec, s[12:13]
	s_cbranch_execnz .LBB1_3
; %bb.4:
	s_or_b64 exec, exec, s[12:13]
.LBB1_5:
	s_or_b64 exec, exec, s[10:11]
.LBB1_6:
	s_or_b64 exec, exec, s[8:9]
	v_mov_b32_e32 v14, 0
	s_waitcnt lgkmcnt(0)
	global_load_dwordx2 v[12:13], v14, s[6:7] offset:40
	global_load_dwordx4 v[5:8], v14, s[6:7]
	v_readfirstlane_b32 s9, v10
	v_readfirstlane_b32 s8, v9
	s_mov_b64 s[10:11], exec
	s_waitcnt vmcnt(1)
	v_readfirstlane_b32 s12, v12
	v_readfirstlane_b32 s13, v13
	s_and_b64 s[12:13], s[12:13], s[8:9]
	s_mul_i32 s14, s13, 24
	s_mul_hi_u32 s15, s12, 24
	s_mul_i32 s16, s12, 24
	s_add_i32 s14, s15, s14
	v_mov_b32_e32 v10, s14
	s_waitcnt vmcnt(0)
	v_add_co_u32_e32 v9, vcc, s16, v5
	v_addc_co_u32_e32 v10, vcc, v6, v10, vcc
	s_and_saveexec_b64 s[14:15], s[4:5]
	s_cbranch_execz .LBB1_8
; %bb.7:
	v_mov_b32_e32 v13, s11
	v_mov_b32_e32 v12, s10
	;; [unrolled: 1-line block ×4, first 2 shown]
	global_store_dwordx4 v[9:10], v[12:15], off offset:8
.LBB1_8:
	s_or_b64 exec, exec, s[14:15]
	s_lshl_b64 s[10:11], s[12:13], 12
	v_mov_b32_e32 v12, s11
	v_add_co_u32_e32 v7, vcc, s10, v7
	v_addc_co_u32_e32 v8, vcc, v8, v12, vcc
	v_or_b32_e32 v12, 2, v0
	v_cmp_eq_u32_e32 vcc, 0, v4
	v_cndmask_b32_e32 v0, v12, v0, vcc
	s_movk_i32 s10, 0xff1f
	s_mov_b32 s12, 0
	v_and_or_b32 v0, v0, s10, 32
	v_lshlrev_b32_e32 v4, 6, v11
	v_readfirstlane_b32 s10, v7
	v_readfirstlane_b32 s11, v8
	s_mov_b32 s13, s12
	s_mov_b32 s14, s12
	;; [unrolled: 1-line block ×3, first 2 shown]
	s_nop 1
	global_store_dwordx4 v4, v[0:3], s[10:11]
	s_nop 0
	v_mov_b32_e32 v0, s12
	v_mov_b32_e32 v1, s13
	;; [unrolled: 1-line block ×4, first 2 shown]
	global_store_dwordx4 v4, v[0:3], s[10:11] offset:16
	global_store_dwordx4 v4, v[0:3], s[10:11] offset:32
	;; [unrolled: 1-line block ×3, first 2 shown]
	s_and_saveexec_b64 s[10:11], s[4:5]
	s_cbranch_execz .LBB1_16
; %bb.9:
	v_mov_b32_e32 v7, 0
	global_load_dwordx2 v[13:14], v7, s[6:7] offset:32 glc
	global_load_dwordx2 v[0:1], v7, s[6:7] offset:40
	v_mov_b32_e32 v11, s8
	v_mov_b32_e32 v12, s9
	s_waitcnt vmcnt(0)
	v_and_b32_e32 v0, s8, v0
	v_and_b32_e32 v1, s9, v1
	v_mul_lo_u32 v1, v1, 24
	v_mul_hi_u32 v2, v0, 24
	v_mul_lo_u32 v0, v0, 24
	v_add_u32_e32 v1, v2, v1
	v_add_co_u32_e32 v4, vcc, v5, v0
	v_addc_co_u32_e32 v5, vcc, v6, v1, vcc
	global_store_dwordx2 v[4:5], v[13:14], off
	s_waitcnt vmcnt(0)
	global_atomic_cmpswap_x2 v[2:3], v7, v[11:14], s[6:7] offset:32 glc
	s_waitcnt vmcnt(0)
	v_cmp_ne_u64_e32 vcc, v[2:3], v[13:14]
	s_and_saveexec_b64 s[12:13], vcc
	s_cbranch_execz .LBB1_12
; %bb.10:
	s_mov_b64 s[14:15], 0
.LBB1_11:                               ; =>This Inner Loop Header: Depth=1
	s_sleep 1
	global_store_dwordx2 v[4:5], v[2:3], off
	v_mov_b32_e32 v0, s8
	v_mov_b32_e32 v1, s9
	s_waitcnt vmcnt(0)
	global_atomic_cmpswap_x2 v[0:1], v7, v[0:3], s[6:7] offset:32 glc
	s_waitcnt vmcnt(0)
	v_cmp_eq_u64_e32 vcc, v[0:1], v[2:3]
	v_mov_b32_e32 v3, v1
	s_or_b64 s[14:15], vcc, s[14:15]
	v_mov_b32_e32 v2, v0
	s_andn2_b64 exec, exec, s[14:15]
	s_cbranch_execnz .LBB1_11
.LBB1_12:
	s_or_b64 exec, exec, s[12:13]
	v_mov_b32_e32 v3, 0
	global_load_dwordx2 v[0:1], v3, s[6:7] offset:16
	s_mov_b64 s[12:13], exec
	v_mbcnt_lo_u32_b32 v2, s12, 0
	v_mbcnt_hi_u32_b32 v2, s13, v2
	v_cmp_eq_u32_e32 vcc, 0, v2
	s_and_saveexec_b64 s[14:15], vcc
	s_cbranch_execz .LBB1_14
; %bb.13:
	s_bcnt1_i32_b64 s12, s[12:13]
	v_mov_b32_e32 v2, s12
	s_waitcnt vmcnt(0)
	global_atomic_add_x2 v[0:1], v[2:3], off offset:8
.LBB1_14:
	s_or_b64 exec, exec, s[14:15]
	s_waitcnt vmcnt(0)
	global_load_dwordx2 v[2:3], v[0:1], off offset:16
	s_waitcnt vmcnt(0)
	v_cmp_eq_u64_e32 vcc, 0, v[2:3]
	s_cbranch_vccnz .LBB1_16
; %bb.15:
	global_load_dword v0, v[0:1], off offset:24
	v_mov_b32_e32 v1, 0
	s_waitcnt vmcnt(0)
	v_readfirstlane_b32 s12, v0
	s_and_b32 m0, s12, 0xffffff
	global_store_dwordx2 v[2:3], v[0:1], off
	s_sendmsg sendmsg(MSG_INTERRUPT)
.LBB1_16:
	s_or_b64 exec, exec, s[10:11]
	s_branch .LBB1_20
.LBB1_17:                               ;   in Loop: Header=BB1_20 Depth=1
	s_or_b64 exec, exec, s[10:11]
	v_readfirstlane_b32 s10, v0
	s_cmp_eq_u32 s10, 0
	s_cbranch_scc1 .LBB1_19
; %bb.18:                               ;   in Loop: Header=BB1_20 Depth=1
	s_sleep 1
	s_cbranch_execnz .LBB1_20
	s_branch .LBB1_22
.LBB1_19:
	s_branch .LBB1_22
.LBB1_20:                               ; =>This Inner Loop Header: Depth=1
	v_mov_b32_e32 v0, 1
	s_and_saveexec_b64 s[10:11], s[4:5]
	s_cbranch_execz .LBB1_17
; %bb.21:                               ;   in Loop: Header=BB1_20 Depth=1
	global_load_dword v0, v[9:10], off offset:20 glc
	s_waitcnt vmcnt(0)
	buffer_wbinvl1_vol
	v_and_b32_e32 v0, 1, v0
	s_branch .LBB1_17
.LBB1_22:
	s_and_saveexec_b64 s[10:11], s[4:5]
	s_cbranch_execz .LBB1_25
; %bb.23:
	v_mov_b32_e32 v6, 0
	global_load_dwordx2 v[0:1], v6, s[6:7] offset:40
	global_load_dwordx2 v[9:10], v6, s[6:7] offset:24 glc
	global_load_dwordx2 v[2:3], v6, s[6:7]
	s_waitcnt vmcnt(2)
	v_readfirstlane_b32 s12, v0
	v_readfirstlane_b32 s13, v1
	s_add_u32 s14, s12, 1
	s_addc_u32 s15, s13, 0
	s_add_u32 s4, s14, s8
	s_addc_u32 s5, s15, s9
	s_cmp_eq_u64 s[4:5], 0
	s_cselect_b32 s5, s15, s5
	s_cselect_b32 s4, s14, s4
	s_and_b64 s[8:9], s[4:5], s[12:13]
	s_mul_i32 s9, s9, 24
	s_mul_hi_u32 s12, s8, 24
	s_mul_i32 s8, s8, 24
	s_add_i32 s9, s12, s9
	v_mov_b32_e32 v0, s9
	s_waitcnt vmcnt(0)
	v_add_co_u32_e32 v4, vcc, s8, v2
	v_addc_co_u32_e32 v5, vcc, v3, v0, vcc
	v_mov_b32_e32 v7, s4
	global_store_dwordx2 v[4:5], v[9:10], off
	v_mov_b32_e32 v8, s5
	s_waitcnt vmcnt(0)
	global_atomic_cmpswap_x2 v[2:3], v6, v[7:10], s[6:7] offset:24 glc
	s_mov_b64 s[8:9], 0
	s_waitcnt vmcnt(0)
	v_cmp_ne_u64_e32 vcc, v[2:3], v[9:10]
	s_and_b64 exec, exec, vcc
	s_cbranch_execz .LBB1_25
.LBB1_24:                               ; =>This Inner Loop Header: Depth=1
	s_sleep 1
	global_store_dwordx2 v[4:5], v[2:3], off
	v_mov_b32_e32 v0, s4
	v_mov_b32_e32 v1, s5
	s_waitcnt vmcnt(0)
	global_atomic_cmpswap_x2 v[0:1], v6, v[0:3], s[6:7] offset:24 glc
	s_waitcnt vmcnt(0)
	v_cmp_eq_u64_e32 vcc, v[0:1], v[2:3]
	v_mov_b32_e32 v3, v1
	s_or_b64 s[8:9], vcc, s[8:9]
	v_mov_b32_e32 v2, v0
	s_andn2_b64 exec, exec, s[8:9]
	s_cbranch_execnz .LBB1_24
.LBB1_25:
	s_or_b64 exec, exec, s[10:11]
	s_waitcnt vmcnt(0) lgkmcnt(0)
	s_setpc_b64 s[30:31]
.Lfunc_end1:
	.size	__ockl_printf_append_args, .Lfunc_end1-__ockl_printf_append_args
                                        ; -- End function
	.set .L__ockl_printf_append_args.num_vgpr, 16
	.set .L__ockl_printf_append_args.num_agpr, 0
	.set .L__ockl_printf_append_args.numbered_sgpr, 32
	.set .L__ockl_printf_append_args.num_named_barrier, 0
	.set .L__ockl_printf_append_args.private_seg_size, 0
	.set .L__ockl_printf_append_args.uses_vcc, 1
	.set .L__ockl_printf_append_args.uses_flat_scratch, 0
	.set .L__ockl_printf_append_args.has_dyn_sized_stack, 0
	.set .L__ockl_printf_append_args.has_recursion, 0
	.set .L__ockl_printf_append_args.has_indirect_call, 0
	.section	.AMDGPU.csdata,"",@progbits
; Function info:
; codeLenInByte = 1204
; TotalNumSgprs: 36
; NumVgprs: 16
; ScratchSize: 0
; MemoryBound: 0
	.text
	.p2align	2                               ; -- Begin function _ZL14no_device_codePKciS0_iS0_
	.type	_ZL14no_device_codePKciS0_iS0_,@function
_ZL14no_device_codePKciS0_iS0_:         ; @_ZL14no_device_codePKciS0_iS0_
; %bb.0:
	s_waitcnt vmcnt(0) expcnt(0) lgkmcnt(0)
	s_mov_b32 s25, s33
	s_mov_b32 s33, s32
	s_xor_saveexec_b64 s[4:5], -1
	buffer_store_dword v37, off, s[0:3], s33 ; 4-byte Folded Spill
	s_mov_b64 exec, s[4:5]
	v_writelane_b32 v37, s30, 0
	s_addk_i32 s32, 0x400
	v_writelane_b32 v37, s31, 1
	s_load_dwordx2 s[6:7], s[8:9], 0x50
	v_mov_b32_e32 v3, v2
	v_mov_b32_e32 v2, v1
	v_mbcnt_lo_u32_b32 v1, -1, 0
	v_mbcnt_hi_u32_b32 v33, -1, v1
	v_readfirstlane_b32 s4, v33
	v_mov_b32_e32 v9, 0
	s_mov_b64 s[26:27], s[8:9]
	v_mov_b32_e32 v10, 0
	v_cmp_eq_u32_e64 s[4:5], s4, v33
	s_and_saveexec_b64 s[10:11], s[4:5]
	s_cbranch_execz .LBB2_6
; %bb.1:
	v_mov_b32_e32 v1, 0
	s_waitcnt lgkmcnt(0)
	global_load_dwordx2 v[6:7], v1, s[6:7] offset:24 glc
	s_waitcnt vmcnt(0)
	buffer_wbinvl1_vol
	global_load_dwordx2 v[4:5], v1, s[6:7] offset:40
	global_load_dwordx2 v[8:9], v1, s[6:7]
	s_waitcnt vmcnt(1)
	v_and_b32_e32 v4, v4, v6
	v_and_b32_e32 v5, v5, v7
	v_mul_lo_u32 v5, v5, 24
	v_mul_hi_u32 v10, v4, 24
	v_mul_lo_u32 v4, v4, 24
	v_add_u32_e32 v5, v10, v5
	s_waitcnt vmcnt(0)
	v_add_co_u32_e32 v4, vcc, v8, v4
	v_addc_co_u32_e32 v5, vcc, v9, v5, vcc
	global_load_dwordx2 v[4:5], v[4:5], off glc
	s_waitcnt vmcnt(0)
	global_atomic_cmpswap_x2 v[9:10], v1, v[4:7], s[6:7] offset:24 glc
	s_waitcnt vmcnt(0)
	buffer_wbinvl1_vol
	v_cmp_ne_u64_e32 vcc, v[9:10], v[6:7]
	s_and_saveexec_b64 s[12:13], vcc
	s_cbranch_execz .LBB2_5
; %bb.2:
	s_mov_b64 s[14:15], 0
.LBB2_3:                                ; =>This Inner Loop Header: Depth=1
	s_sleep 1
	global_load_dwordx2 v[4:5], v1, s[6:7] offset:40
	global_load_dwordx2 v[11:12], v1, s[6:7]
	v_mov_b32_e32 v6, v9
	v_mov_b32_e32 v7, v10
	s_waitcnt vmcnt(1)
	v_and_b32_e32 v4, v4, v6
	s_waitcnt vmcnt(0)
	v_mad_u64_u32 v[8:9], s[16:17], v4, 24, v[11:12]
	v_and_b32_e32 v5, v5, v7
	v_mov_b32_e32 v4, v9
	v_mad_u64_u32 v[4:5], s[16:17], v5, 24, v[4:5]
	v_mov_b32_e32 v9, v4
	global_load_dwordx2 v[4:5], v[8:9], off glc
	s_waitcnt vmcnt(0)
	global_atomic_cmpswap_x2 v[9:10], v1, v[4:7], s[6:7] offset:24 glc
	s_waitcnt vmcnt(0)
	buffer_wbinvl1_vol
	v_cmp_eq_u64_e32 vcc, v[9:10], v[6:7]
	s_or_b64 s[14:15], vcc, s[14:15]
	s_andn2_b64 exec, exec, s[14:15]
	s_cbranch_execnz .LBB2_3
; %bb.4:
	s_or_b64 exec, exec, s[14:15]
.LBB2_5:
	s_or_b64 exec, exec, s[12:13]
.LBB2_6:
	s_or_b64 exec, exec, s[10:11]
	v_mov_b32_e32 v8, 0
	s_waitcnt lgkmcnt(0)
	global_load_dwordx2 v[11:12], v8, s[6:7] offset:40
	global_load_dwordx4 v[4:7], v8, s[6:7]
	v_readfirstlane_b32 s11, v10
	v_readfirstlane_b32 s10, v9
	s_mov_b64 s[12:13], exec
	s_waitcnt vmcnt(1)
	v_readfirstlane_b32 s14, v11
	v_readfirstlane_b32 s15, v12
	s_and_b64 s[14:15], s[14:15], s[10:11]
	s_mul_i32 s16, s15, 24
	s_mul_hi_u32 s17, s14, 24
	s_mul_i32 s18, s14, 24
	s_add_i32 s16, s17, s16
	v_mov_b32_e32 v1, s16
	s_waitcnt vmcnt(0)
	v_add_co_u32_e32 v11, vcc, s18, v4
	v_addc_co_u32_e32 v12, vcc, v5, v1, vcc
	s_and_saveexec_b64 s[16:17], s[4:5]
	s_cbranch_execz .LBB2_8
; %bb.7:
	v_mov_b32_e32 v14, s13
	v_mov_b32_e32 v13, s12
	;; [unrolled: 1-line block ×4, first 2 shown]
	global_store_dwordx4 v[11:12], v[13:16], off offset:8
.LBB2_8:
	s_or_b64 exec, exec, s[16:17]
	s_lshl_b64 s[12:13], s[14:15], 12
	v_mov_b32_e32 v1, s13
	v_add_co_u32_e32 v6, vcc, s12, v6
	v_addc_co_u32_e32 v15, vcc, v7, v1, vcc
	v_lshlrev_b32_e32 v1, 6, v33
	s_mov_b32 s12, 0
	v_mov_b32_e32 v7, 33
	v_mov_b32_e32 v9, v8
	;; [unrolled: 1-line block ×3, first 2 shown]
	v_readfirstlane_b32 s16, v6
	v_readfirstlane_b32 s17, v15
	v_add_co_u32_e32 v13, vcc, v6, v1
	s_mov_b32 s13, s12
	s_mov_b32 s14, s12
	;; [unrolled: 1-line block ×3, first 2 shown]
	s_nop 0
	global_store_dwordx4 v1, v[7:10], s[16:17]
	v_mov_b32_e32 v6, s12
	v_addc_co_u32_e32 v14, vcc, 0, v15, vcc
	v_mov_b32_e32 v7, s13
	v_mov_b32_e32 v8, s14
	;; [unrolled: 1-line block ×3, first 2 shown]
	global_store_dwordx4 v1, v[6:9], s[16:17] offset:16
	global_store_dwordx4 v1, v[6:9], s[16:17] offset:32
	global_store_dwordx4 v1, v[6:9], s[16:17] offset:48
	s_and_saveexec_b64 s[12:13], s[4:5]
	s_cbranch_execz .LBB2_16
; %bb.9:
	v_mov_b32_e32 v10, 0
	global_load_dwordx2 v[17:18], v10, s[6:7] offset:32 glc
	global_load_dwordx2 v[6:7], v10, s[6:7] offset:40
	v_mov_b32_e32 v15, s10
	v_mov_b32_e32 v16, s11
	s_waitcnt vmcnt(0)
	v_and_b32_e32 v6, s10, v6
	v_and_b32_e32 v7, s11, v7
	v_mul_lo_u32 v7, v7, 24
	v_mul_hi_u32 v8, v6, 24
	v_mul_lo_u32 v6, v6, 24
	v_add_u32_e32 v7, v8, v7
	v_add_co_u32_e32 v8, vcc, v4, v6
	v_addc_co_u32_e32 v9, vcc, v5, v7, vcc
	global_store_dwordx2 v[8:9], v[17:18], off
	s_waitcnt vmcnt(0)
	global_atomic_cmpswap_x2 v[6:7], v10, v[15:18], s[6:7] offset:32 glc
	s_waitcnt vmcnt(0)
	v_cmp_ne_u64_e32 vcc, v[6:7], v[17:18]
	s_and_saveexec_b64 s[14:15], vcc
	s_cbranch_execz .LBB2_12
; %bb.10:
	s_mov_b64 s[16:17], 0
.LBB2_11:                               ; =>This Inner Loop Header: Depth=1
	s_sleep 1
	global_store_dwordx2 v[8:9], v[6:7], off
	v_mov_b32_e32 v4, s10
	v_mov_b32_e32 v5, s11
	s_waitcnt vmcnt(0)
	global_atomic_cmpswap_x2 v[4:5], v10, v[4:7], s[6:7] offset:32 glc
	s_waitcnt vmcnt(0)
	v_cmp_eq_u64_e32 vcc, v[4:5], v[6:7]
	v_mov_b32_e32 v7, v5
	s_or_b64 s[16:17], vcc, s[16:17]
	v_mov_b32_e32 v6, v4
	s_andn2_b64 exec, exec, s[16:17]
	s_cbranch_execnz .LBB2_11
.LBB2_12:
	s_or_b64 exec, exec, s[14:15]
	v_mov_b32_e32 v7, 0
	global_load_dwordx2 v[4:5], v7, s[6:7] offset:16
	s_mov_b64 s[14:15], exec
	v_mbcnt_lo_u32_b32 v6, s14, 0
	v_mbcnt_hi_u32_b32 v6, s15, v6
	v_cmp_eq_u32_e32 vcc, 0, v6
	s_and_saveexec_b64 s[16:17], vcc
	s_cbranch_execz .LBB2_14
; %bb.13:
	s_bcnt1_i32_b64 s14, s[14:15]
	v_mov_b32_e32 v6, s14
	s_waitcnt vmcnt(0)
	global_atomic_add_x2 v[4:5], v[6:7], off offset:8
.LBB2_14:
	s_or_b64 exec, exec, s[16:17]
	s_waitcnt vmcnt(0)
	global_load_dwordx2 v[6:7], v[4:5], off offset:16
	s_waitcnt vmcnt(0)
	v_cmp_eq_u64_e32 vcc, 0, v[6:7]
	s_cbranch_vccnz .LBB2_16
; %bb.15:
	global_load_dword v4, v[4:5], off offset:24
	v_mov_b32_e32 v5, 0
	s_waitcnt vmcnt(0)
	v_readfirstlane_b32 s14, v4
	s_and_b32 m0, s14, 0xffffff
	global_store_dwordx2 v[6:7], v[4:5], off
	s_sendmsg sendmsg(MSG_INTERRUPT)
.LBB2_16:
	s_or_b64 exec, exec, s[12:13]
	s_branch .LBB2_20
.LBB2_17:                               ;   in Loop: Header=BB2_20 Depth=1
	s_or_b64 exec, exec, s[12:13]
	v_readfirstlane_b32 s12, v4
	s_cmp_eq_u32 s12, 0
	s_cbranch_scc1 .LBB2_19
; %bb.18:                               ;   in Loop: Header=BB2_20 Depth=1
	s_sleep 1
	s_cbranch_execnz .LBB2_20
	s_branch .LBB2_22
.LBB2_19:
	s_branch .LBB2_22
.LBB2_20:                               ; =>This Inner Loop Header: Depth=1
	v_mov_b32_e32 v4, 1
	s_and_saveexec_b64 s[12:13], s[4:5]
	s_cbranch_execz .LBB2_17
; %bb.21:                               ;   in Loop: Header=BB2_20 Depth=1
	global_load_dword v4, v[11:12], off offset:20 glc
	s_waitcnt vmcnt(0)
	buffer_wbinvl1_vol
	v_and_b32_e32 v4, 1, v4
	s_branch .LBB2_17
.LBB2_22:
	global_load_dwordx2 v[8:9], v[13:14], off
	s_and_saveexec_b64 s[12:13], s[4:5]
	s_cbranch_execz .LBB2_25
; %bb.23:
	v_mov_b32_e32 v12, 0
	global_load_dwordx2 v[4:5], v12, s[6:7] offset:40
	global_load_dwordx2 v[15:16], v12, s[6:7] offset:24 glc
	global_load_dwordx2 v[6:7], v12, s[6:7]
	s_waitcnt vmcnt(2)
	v_readfirstlane_b32 s14, v4
	v_readfirstlane_b32 s15, v5
	s_add_u32 s16, s14, 1
	s_addc_u32 s17, s15, 0
	s_add_u32 s4, s16, s10
	s_addc_u32 s5, s17, s11
	s_cmp_eq_u64 s[4:5], 0
	s_cselect_b32 s5, s17, s5
	s_cselect_b32 s4, s16, s4
	s_and_b64 s[10:11], s[4:5], s[14:15]
	s_mul_i32 s11, s11, 24
	s_mul_hi_u32 s14, s10, 24
	s_mul_i32 s10, s10, 24
	s_add_i32 s11, s14, s11
	v_mov_b32_e32 v4, s11
	s_waitcnt vmcnt(0)
	v_add_co_u32_e32 v10, vcc, s10, v6
	v_addc_co_u32_e32 v11, vcc, v7, v4, vcc
	v_mov_b32_e32 v13, s4
	global_store_dwordx2 v[10:11], v[15:16], off
	v_mov_b32_e32 v14, s5
	s_waitcnt vmcnt(0)
	global_atomic_cmpswap_x2 v[6:7], v12, v[13:16], s[6:7] offset:24 glc
	s_mov_b64 s[10:11], 0
	s_waitcnt vmcnt(0)
	v_cmp_ne_u64_e32 vcc, v[6:7], v[15:16]
	s_and_b64 exec, exec, vcc
	s_cbranch_execz .LBB2_25
.LBB2_24:                               ; =>This Inner Loop Header: Depth=1
	s_sleep 1
	global_store_dwordx2 v[10:11], v[6:7], off
	v_mov_b32_e32 v4, s4
	v_mov_b32_e32 v5, s5
	s_waitcnt vmcnt(0)
	global_atomic_cmpswap_x2 v[4:5], v12, v[4:7], s[6:7] offset:24 glc
	s_waitcnt vmcnt(0)
	v_cmp_eq_u64_e32 vcc, v[4:5], v[6:7]
	v_mov_b32_e32 v7, v5
	s_or_b64 s[10:11], vcc, s[10:11]
	v_mov_b32_e32 v6, v4
	s_andn2_b64 exec, exec, s[10:11]
	s_cbranch_execnz .LBB2_24
.LBB2_25:
	s_or_b64 exec, exec, s[12:13]
	s_getpc_b64 s[10:11]
	s_add_u32 s10, s10, .str.2@rel32@lo+4
	s_addc_u32 s11, s11, .str.2@rel32@hi+12
	s_cmp_lg_u64 s[10:11], 0
	s_cbranch_scc0 .LBB2_110
; %bb.26:
	s_waitcnt vmcnt(0)
	v_and_b32_e32 v34, 2, v8
	v_mov_b32_e32 v30, 0
	v_and_b32_e32 v4, -3, v8
	v_mov_b32_e32 v5, v9
	s_mov_b64 s[12:13], 0x4d
	v_mov_b32_e32 v12, 2
	v_mov_b32_e32 v13, 1
	s_branch .LBB2_28
.LBB2_27:                               ;   in Loop: Header=BB2_28 Depth=1
	s_or_b64 exec, exec, s[18:19]
	s_sub_u32 s12, s12, s14
	s_subb_u32 s13, s13, s15
	s_add_u32 s10, s10, s14
	s_addc_u32 s11, s11, s15
	s_cmp_lg_u64 s[12:13], 0
	s_cbranch_scc0 .LBB2_111
.LBB2_28:                               ; =>This Loop Header: Depth=1
                                        ;     Child Loop BB2_31 Depth 2
                                        ;     Child Loop BB2_39 Depth 2
	;; [unrolled: 1-line block ×11, first 2 shown]
	v_cmp_lt_u64_e64 s[4:5], s[12:13], 56
	v_cmp_gt_u64_e64 s[16:17], s[12:13], 7
	s_and_b64 s[4:5], s[4:5], exec
	s_cselect_b32 s15, s13, 0
	s_cselect_b32 s14, s12, 56
	s_add_u32 s4, s10, 8
	s_addc_u32 s5, s11, 0
	s_and_b64 vcc, exec, s[16:17]
	s_cbranch_vccnz .LBB2_32
; %bb.29:                               ;   in Loop: Header=BB2_28 Depth=1
	s_cmp_eq_u64 s[12:13], 0
	s_cbranch_scc1 .LBB2_33
; %bb.30:                               ;   in Loop: Header=BB2_28 Depth=1
	v_mov_b32_e32 v6, 0
	s_lshl_b64 s[4:5], s[14:15], 3
	s_mov_b64 s[16:17], 0
	v_mov_b32_e32 v7, 0
	s_mov_b64 s[18:19], s[10:11]
.LBB2_31:                               ;   Parent Loop BB2_28 Depth=1
                                        ; =>  This Inner Loop Header: Depth=2
	global_load_ubyte v10, v30, s[18:19]
	s_waitcnt vmcnt(0)
	v_and_b32_e32 v29, 0xffff, v10
	v_lshlrev_b64 v[10:11], s16, v[29:30]
	s_add_u32 s16, s16, 8
	s_addc_u32 s17, s17, 0
	s_add_u32 s18, s18, 1
	s_addc_u32 s19, s19, 0
	v_or_b32_e32 v6, v10, v6
	s_cmp_lg_u32 s4, s16
	v_or_b32_e32 v7, v11, v7
	s_cbranch_scc1 .LBB2_31
	s_branch .LBB2_34
.LBB2_32:                               ;   in Loop: Header=BB2_28 Depth=1
	s_mov_b32 s20, 0
	s_branch .LBB2_35
.LBB2_33:                               ;   in Loop: Header=BB2_28 Depth=1
	v_mov_b32_e32 v6, 0
	v_mov_b32_e32 v7, 0
.LBB2_34:                               ;   in Loop: Header=BB2_28 Depth=1
	s_mov_b64 s[4:5], s[10:11]
	s_mov_b32 s20, 0
	s_cbranch_execnz .LBB2_36
.LBB2_35:                               ;   in Loop: Header=BB2_28 Depth=1
	global_load_dwordx2 v[6:7], v30, s[10:11]
	s_add_i32 s20, s14, -8
.LBB2_36:                               ;   in Loop: Header=BB2_28 Depth=1
	s_add_u32 s16, s4, 8
	s_addc_u32 s17, s5, 0
	s_cmp_gt_u32 s20, 7
	s_cbranch_scc1 .LBB2_40
; %bb.37:                               ;   in Loop: Header=BB2_28 Depth=1
	s_cmp_eq_u32 s20, 0
	s_cbranch_scc1 .LBB2_41
; %bb.38:                               ;   in Loop: Header=BB2_28 Depth=1
	v_mov_b32_e32 v14, 0
	s_mov_b64 s[16:17], 0
	v_mov_b32_e32 v15, 0
	s_mov_b64 s[18:19], 0
.LBB2_39:                               ;   Parent Loop BB2_28 Depth=1
                                        ; =>  This Inner Loop Header: Depth=2
	s_add_u32 s22, s4, s18
	s_addc_u32 s23, s5, s19
	global_load_ubyte v10, v30, s[22:23]
	s_add_u32 s18, s18, 1
	s_addc_u32 s19, s19, 0
	s_waitcnt vmcnt(0)
	v_and_b32_e32 v29, 0xffff, v10
	v_lshlrev_b64 v[10:11], s16, v[29:30]
	s_add_u32 s16, s16, 8
	s_addc_u32 s17, s17, 0
	v_or_b32_e32 v14, v10, v14
	s_cmp_lg_u32 s20, s18
	v_or_b32_e32 v15, v11, v15
	s_cbranch_scc1 .LBB2_39
	s_branch .LBB2_42
.LBB2_40:                               ;   in Loop: Header=BB2_28 Depth=1
                                        ; implicit-def: $vgpr14_vgpr15
	s_mov_b32 s21, 0
	s_branch .LBB2_43
.LBB2_41:                               ;   in Loop: Header=BB2_28 Depth=1
	v_mov_b32_e32 v14, 0
	v_mov_b32_e32 v15, 0
.LBB2_42:                               ;   in Loop: Header=BB2_28 Depth=1
	s_mov_b64 s[16:17], s[4:5]
	s_mov_b32 s21, 0
	s_cbranch_execnz .LBB2_44
.LBB2_43:                               ;   in Loop: Header=BB2_28 Depth=1
	global_load_dwordx2 v[14:15], v30, s[4:5]
	s_add_i32 s21, s20, -8
.LBB2_44:                               ;   in Loop: Header=BB2_28 Depth=1
	s_add_u32 s4, s16, 8
	s_addc_u32 s5, s17, 0
	s_cmp_gt_u32 s21, 7
	s_cbranch_scc1 .LBB2_48
; %bb.45:                               ;   in Loop: Header=BB2_28 Depth=1
	s_cmp_eq_u32 s21, 0
	s_cbranch_scc1 .LBB2_49
; %bb.46:                               ;   in Loop: Header=BB2_28 Depth=1
	v_mov_b32_e32 v16, 0
	s_mov_b64 s[4:5], 0
	v_mov_b32_e32 v17, 0
	s_mov_b64 s[18:19], 0
.LBB2_47:                               ;   Parent Loop BB2_28 Depth=1
                                        ; =>  This Inner Loop Header: Depth=2
	s_add_u32 s22, s16, s18
	s_addc_u32 s23, s17, s19
	global_load_ubyte v10, v30, s[22:23]
	s_add_u32 s18, s18, 1
	s_addc_u32 s19, s19, 0
	s_waitcnt vmcnt(0)
	v_and_b32_e32 v29, 0xffff, v10
	v_lshlrev_b64 v[10:11], s4, v[29:30]
	s_add_u32 s4, s4, 8
	s_addc_u32 s5, s5, 0
	v_or_b32_e32 v16, v10, v16
	s_cmp_lg_u32 s21, s18
	v_or_b32_e32 v17, v11, v17
	s_cbranch_scc1 .LBB2_47
	s_branch .LBB2_50
.LBB2_48:                               ;   in Loop: Header=BB2_28 Depth=1
	s_mov_b32 s20, 0
	s_branch .LBB2_51
.LBB2_49:                               ;   in Loop: Header=BB2_28 Depth=1
	v_mov_b32_e32 v16, 0
	v_mov_b32_e32 v17, 0
.LBB2_50:                               ;   in Loop: Header=BB2_28 Depth=1
	s_mov_b64 s[4:5], s[16:17]
	s_mov_b32 s20, 0
	s_cbranch_execnz .LBB2_52
.LBB2_51:                               ;   in Loop: Header=BB2_28 Depth=1
	global_load_dwordx2 v[16:17], v30, s[16:17]
	s_add_i32 s20, s21, -8
.LBB2_52:                               ;   in Loop: Header=BB2_28 Depth=1
	s_add_u32 s16, s4, 8
	s_addc_u32 s17, s5, 0
	s_cmp_gt_u32 s20, 7
	s_cbranch_scc1 .LBB2_56
; %bb.53:                               ;   in Loop: Header=BB2_28 Depth=1
	s_cmp_eq_u32 s20, 0
	s_cbranch_scc1 .LBB2_57
; %bb.54:                               ;   in Loop: Header=BB2_28 Depth=1
	v_mov_b32_e32 v18, 0
	s_mov_b64 s[16:17], 0
	v_mov_b32_e32 v19, 0
	s_mov_b64 s[18:19], 0
.LBB2_55:                               ;   Parent Loop BB2_28 Depth=1
                                        ; =>  This Inner Loop Header: Depth=2
	s_add_u32 s22, s4, s18
	s_addc_u32 s23, s5, s19
	global_load_ubyte v10, v30, s[22:23]
	s_add_u32 s18, s18, 1
	s_addc_u32 s19, s19, 0
	s_waitcnt vmcnt(0)
	v_and_b32_e32 v29, 0xffff, v10
	v_lshlrev_b64 v[10:11], s16, v[29:30]
	s_add_u32 s16, s16, 8
	s_addc_u32 s17, s17, 0
	v_or_b32_e32 v18, v10, v18
	s_cmp_lg_u32 s20, s18
	v_or_b32_e32 v19, v11, v19
	s_cbranch_scc1 .LBB2_55
	s_branch .LBB2_58
.LBB2_56:                               ;   in Loop: Header=BB2_28 Depth=1
                                        ; implicit-def: $vgpr18_vgpr19
	s_mov_b32 s21, 0
	s_branch .LBB2_59
.LBB2_57:                               ;   in Loop: Header=BB2_28 Depth=1
	v_mov_b32_e32 v18, 0
	v_mov_b32_e32 v19, 0
.LBB2_58:                               ;   in Loop: Header=BB2_28 Depth=1
	s_mov_b64 s[16:17], s[4:5]
	s_mov_b32 s21, 0
	s_cbranch_execnz .LBB2_60
.LBB2_59:                               ;   in Loop: Header=BB2_28 Depth=1
	global_load_dwordx2 v[18:19], v30, s[4:5]
	s_add_i32 s21, s20, -8
.LBB2_60:                               ;   in Loop: Header=BB2_28 Depth=1
	s_add_u32 s4, s16, 8
	s_addc_u32 s5, s17, 0
	s_cmp_gt_u32 s21, 7
	s_cbranch_scc1 .LBB2_64
; %bb.61:                               ;   in Loop: Header=BB2_28 Depth=1
	s_cmp_eq_u32 s21, 0
	s_cbranch_scc1 .LBB2_65
; %bb.62:                               ;   in Loop: Header=BB2_28 Depth=1
	v_mov_b32_e32 v20, 0
	s_mov_b64 s[4:5], 0
	v_mov_b32_e32 v21, 0
	s_mov_b64 s[18:19], 0
.LBB2_63:                               ;   Parent Loop BB2_28 Depth=1
                                        ; =>  This Inner Loop Header: Depth=2
	s_add_u32 s22, s16, s18
	s_addc_u32 s23, s17, s19
	global_load_ubyte v10, v30, s[22:23]
	s_add_u32 s18, s18, 1
	s_addc_u32 s19, s19, 0
	s_waitcnt vmcnt(0)
	v_and_b32_e32 v29, 0xffff, v10
	v_lshlrev_b64 v[10:11], s4, v[29:30]
	s_add_u32 s4, s4, 8
	s_addc_u32 s5, s5, 0
	v_or_b32_e32 v20, v10, v20
	s_cmp_lg_u32 s21, s18
	v_or_b32_e32 v21, v11, v21
	s_cbranch_scc1 .LBB2_63
	s_branch .LBB2_66
.LBB2_64:                               ;   in Loop: Header=BB2_28 Depth=1
	s_mov_b32 s20, 0
	s_branch .LBB2_67
.LBB2_65:                               ;   in Loop: Header=BB2_28 Depth=1
	v_mov_b32_e32 v20, 0
	v_mov_b32_e32 v21, 0
.LBB2_66:                               ;   in Loop: Header=BB2_28 Depth=1
	s_mov_b64 s[4:5], s[16:17]
	s_mov_b32 s20, 0
	s_cbranch_execnz .LBB2_68
.LBB2_67:                               ;   in Loop: Header=BB2_28 Depth=1
	global_load_dwordx2 v[20:21], v30, s[16:17]
	s_add_i32 s20, s21, -8
.LBB2_68:                               ;   in Loop: Header=BB2_28 Depth=1
	s_add_u32 s16, s4, 8
	s_addc_u32 s17, s5, 0
	s_cmp_gt_u32 s20, 7
	s_cbranch_scc1 .LBB2_72
; %bb.69:                               ;   in Loop: Header=BB2_28 Depth=1
	s_cmp_eq_u32 s20, 0
	s_cbranch_scc1 .LBB2_73
; %bb.70:                               ;   in Loop: Header=BB2_28 Depth=1
	v_mov_b32_e32 v22, 0
	s_mov_b64 s[16:17], 0
	v_mov_b32_e32 v23, 0
	s_mov_b64 s[18:19], 0
.LBB2_71:                               ;   Parent Loop BB2_28 Depth=1
                                        ; =>  This Inner Loop Header: Depth=2
	s_add_u32 s22, s4, s18
	s_addc_u32 s23, s5, s19
	global_load_ubyte v10, v30, s[22:23]
	s_add_u32 s18, s18, 1
	s_addc_u32 s19, s19, 0
	s_waitcnt vmcnt(0)
	v_and_b32_e32 v29, 0xffff, v10
	v_lshlrev_b64 v[10:11], s16, v[29:30]
	s_add_u32 s16, s16, 8
	s_addc_u32 s17, s17, 0
	v_or_b32_e32 v22, v10, v22
	s_cmp_lg_u32 s20, s18
	v_or_b32_e32 v23, v11, v23
	s_cbranch_scc1 .LBB2_71
	s_branch .LBB2_74
.LBB2_72:                               ;   in Loop: Header=BB2_28 Depth=1
                                        ; implicit-def: $vgpr22_vgpr23
	s_mov_b32 s21, 0
	s_branch .LBB2_75
.LBB2_73:                               ;   in Loop: Header=BB2_28 Depth=1
	v_mov_b32_e32 v22, 0
	v_mov_b32_e32 v23, 0
.LBB2_74:                               ;   in Loop: Header=BB2_28 Depth=1
	s_mov_b64 s[16:17], s[4:5]
	s_mov_b32 s21, 0
	s_cbranch_execnz .LBB2_76
.LBB2_75:                               ;   in Loop: Header=BB2_28 Depth=1
	global_load_dwordx2 v[22:23], v30, s[4:5]
	s_add_i32 s21, s20, -8
.LBB2_76:                               ;   in Loop: Header=BB2_28 Depth=1
	s_cmp_gt_u32 s21, 7
	s_cbranch_scc1 .LBB2_80
; %bb.77:                               ;   in Loop: Header=BB2_28 Depth=1
	s_cmp_eq_u32 s21, 0
	s_cbranch_scc1 .LBB2_81
; %bb.78:                               ;   in Loop: Header=BB2_28 Depth=1
	v_mov_b32_e32 v24, 0
	s_mov_b64 s[4:5], 0
	v_mov_b32_e32 v25, 0
	s_mov_b64 s[18:19], s[16:17]
.LBB2_79:                               ;   Parent Loop BB2_28 Depth=1
                                        ; =>  This Inner Loop Header: Depth=2
	global_load_ubyte v10, v30, s[18:19]
	s_add_i32 s21, s21, -1
	s_waitcnt vmcnt(0)
	v_and_b32_e32 v29, 0xffff, v10
	v_lshlrev_b64 v[10:11], s4, v[29:30]
	s_add_u32 s4, s4, 8
	s_addc_u32 s5, s5, 0
	s_add_u32 s18, s18, 1
	s_addc_u32 s19, s19, 0
	v_or_b32_e32 v24, v10, v24
	s_cmp_lg_u32 s21, 0
	v_or_b32_e32 v25, v11, v25
	s_cbranch_scc1 .LBB2_79
	s_branch .LBB2_82
.LBB2_80:                               ;   in Loop: Header=BB2_28 Depth=1
	s_branch .LBB2_83
.LBB2_81:                               ;   in Loop: Header=BB2_28 Depth=1
	v_mov_b32_e32 v24, 0
	v_mov_b32_e32 v25, 0
.LBB2_82:                               ;   in Loop: Header=BB2_28 Depth=1
	s_cbranch_execnz .LBB2_84
.LBB2_83:                               ;   in Loop: Header=BB2_28 Depth=1
	global_load_dwordx2 v[24:25], v30, s[16:17]
.LBB2_84:                               ;   in Loop: Header=BB2_28 Depth=1
	v_readfirstlane_b32 s4, v33
	v_mov_b32_e32 v10, 0
	v_mov_b32_e32 v11, 0
	v_cmp_eq_u32_e64 s[4:5], s4, v33
	s_and_saveexec_b64 s[16:17], s[4:5]
	s_cbranch_execz .LBB2_90
; %bb.85:                               ;   in Loop: Header=BB2_28 Depth=1
	global_load_dwordx2 v[28:29], v30, s[6:7] offset:24 glc
	s_waitcnt vmcnt(0)
	buffer_wbinvl1_vol
	global_load_dwordx2 v[10:11], v30, s[6:7] offset:40
	global_load_dwordx2 v[26:27], v30, s[6:7]
	s_waitcnt vmcnt(1)
	v_and_b32_e32 v10, v10, v28
	v_and_b32_e32 v11, v11, v29
	v_mul_lo_u32 v11, v11, 24
	v_mul_hi_u32 v31, v10, 24
	v_mul_lo_u32 v10, v10, 24
	v_add_u32_e32 v11, v31, v11
	s_waitcnt vmcnt(0)
	v_add_co_u32_e32 v10, vcc, v26, v10
	v_addc_co_u32_e32 v11, vcc, v27, v11, vcc
	global_load_dwordx2 v[26:27], v[10:11], off glc
	s_waitcnt vmcnt(0)
	global_atomic_cmpswap_x2 v[10:11], v30, v[26:29], s[6:7] offset:24 glc
	s_waitcnt vmcnt(0)
	buffer_wbinvl1_vol
	v_cmp_ne_u64_e32 vcc, v[10:11], v[28:29]
	s_and_saveexec_b64 s[18:19], vcc
	s_cbranch_execz .LBB2_89
; %bb.86:                               ;   in Loop: Header=BB2_28 Depth=1
	s_mov_b64 s[20:21], 0
.LBB2_87:                               ;   Parent Loop BB2_28 Depth=1
                                        ; =>  This Inner Loop Header: Depth=2
	s_sleep 1
	global_load_dwordx2 v[26:27], v30, s[6:7] offset:40
	global_load_dwordx2 v[31:32], v30, s[6:7]
	v_mov_b32_e32 v29, v11
	v_mov_b32_e32 v28, v10
	s_waitcnt vmcnt(1)
	v_and_b32_e32 v10, v26, v28
	s_waitcnt vmcnt(0)
	v_mad_u64_u32 v[10:11], s[22:23], v10, 24, v[31:32]
	v_and_b32_e32 v26, v27, v29
	v_mad_u64_u32 v[26:27], s[22:23], v26, 24, v[11:12]
	v_mov_b32_e32 v11, v26
	global_load_dwordx2 v[26:27], v[10:11], off glc
	s_waitcnt vmcnt(0)
	global_atomic_cmpswap_x2 v[10:11], v30, v[26:29], s[6:7] offset:24 glc
	s_waitcnt vmcnt(0)
	buffer_wbinvl1_vol
	v_cmp_eq_u64_e32 vcc, v[10:11], v[28:29]
	s_or_b64 s[20:21], vcc, s[20:21]
	s_andn2_b64 exec, exec, s[20:21]
	s_cbranch_execnz .LBB2_87
; %bb.88:                               ;   in Loop: Header=BB2_28 Depth=1
	s_or_b64 exec, exec, s[20:21]
.LBB2_89:                               ;   in Loop: Header=BB2_28 Depth=1
	s_or_b64 exec, exec, s[18:19]
.LBB2_90:                               ;   in Loop: Header=BB2_28 Depth=1
	s_or_b64 exec, exec, s[16:17]
	global_load_dwordx2 v[31:32], v30, s[6:7] offset:40
	global_load_dwordx4 v[26:29], v30, s[6:7]
	v_readfirstlane_b32 s17, v11
	v_readfirstlane_b32 s16, v10
	s_mov_b64 s[18:19], exec
	s_waitcnt vmcnt(1)
	v_readfirstlane_b32 s20, v31
	v_readfirstlane_b32 s21, v32
	s_and_b64 s[20:21], s[20:21], s[16:17]
	s_mul_i32 s22, s21, 24
	s_mul_hi_u32 s23, s20, 24
	s_mul_i32 s24, s20, 24
	s_add_i32 s22, s23, s22
	v_mov_b32_e32 v10, s22
	s_waitcnt vmcnt(0)
	v_add_co_u32_e32 v31, vcc, s24, v26
	v_addc_co_u32_e32 v32, vcc, v27, v10, vcc
	s_and_saveexec_b64 s[22:23], s[4:5]
	s_cbranch_execz .LBB2_92
; %bb.91:                               ;   in Loop: Header=BB2_28 Depth=1
	v_mov_b32_e32 v10, s18
	v_mov_b32_e32 v11, s19
	global_store_dwordx4 v[31:32], v[10:13], off offset:8
.LBB2_92:                               ;   in Loop: Header=BB2_28 Depth=1
	s_or_b64 exec, exec, s[22:23]
	s_lshl_b64 s[18:19], s[20:21], 12
	v_mov_b32_e32 v10, s19
	v_add_co_u32_e32 v28, vcc, s18, v28
	v_addc_co_u32_e32 v35, vcc, v29, v10, vcc
	v_cmp_lt_u64_e64 vcc, s[12:13], 57
	s_lshl_b32 s18, s14, 2
	v_cndmask_b32_e32 v10, 0, v34, vcc
	s_add_i32 s18, s18, 28
	v_and_b32_e32 v4, 0xffffff1f, v4
	s_and_b32 s18, s18, 0x1e0
	v_or_b32_e32 v4, v4, v10
	v_or_b32_e32 v4, s18, v4
	v_readfirstlane_b32 s18, v28
	v_readfirstlane_b32 s19, v35
	s_nop 4
	global_store_dwordx4 v1, v[4:7], s[18:19]
	global_store_dwordx4 v1, v[14:17], s[18:19] offset:16
	global_store_dwordx4 v1, v[18:21], s[18:19] offset:32
	;; [unrolled: 1-line block ×3, first 2 shown]
	s_and_saveexec_b64 s[18:19], s[4:5]
	s_cbranch_execz .LBB2_100
; %bb.93:                               ;   in Loop: Header=BB2_28 Depth=1
	global_load_dwordx2 v[16:17], v30, s[6:7] offset:32 glc
	global_load_dwordx2 v[4:5], v30, s[6:7] offset:40
	v_mov_b32_e32 v14, s16
	v_mov_b32_e32 v15, s17
	s_waitcnt vmcnt(0)
	v_readfirstlane_b32 s20, v4
	v_readfirstlane_b32 s21, v5
	s_and_b64 s[20:21], s[20:21], s[16:17]
	s_mul_i32 s21, s21, 24
	s_mul_hi_u32 s22, s20, 24
	s_mul_i32 s20, s20, 24
	s_add_i32 s21, s22, s21
	v_mov_b32_e32 v4, s21
	v_add_co_u32_e32 v10, vcc, s20, v26
	v_addc_co_u32_e32 v11, vcc, v27, v4, vcc
	global_store_dwordx2 v[10:11], v[16:17], off
	s_waitcnt vmcnt(0)
	global_atomic_cmpswap_x2 v[6:7], v30, v[14:17], s[6:7] offset:32 glc
	s_waitcnt vmcnt(0)
	v_cmp_ne_u64_e32 vcc, v[6:7], v[16:17]
	s_and_saveexec_b64 s[20:21], vcc
	s_cbranch_execz .LBB2_96
; %bb.94:                               ;   in Loop: Header=BB2_28 Depth=1
	s_mov_b64 s[22:23], 0
.LBB2_95:                               ;   Parent Loop BB2_28 Depth=1
                                        ; =>  This Inner Loop Header: Depth=2
	s_sleep 1
	global_store_dwordx2 v[10:11], v[6:7], off
	v_mov_b32_e32 v4, s16
	v_mov_b32_e32 v5, s17
	s_waitcnt vmcnt(0)
	global_atomic_cmpswap_x2 v[4:5], v30, v[4:7], s[6:7] offset:32 glc
	s_waitcnt vmcnt(0)
	v_cmp_eq_u64_e32 vcc, v[4:5], v[6:7]
	v_mov_b32_e32 v7, v5
	s_or_b64 s[22:23], vcc, s[22:23]
	v_mov_b32_e32 v6, v4
	s_andn2_b64 exec, exec, s[22:23]
	s_cbranch_execnz .LBB2_95
.LBB2_96:                               ;   in Loop: Header=BB2_28 Depth=1
	s_or_b64 exec, exec, s[20:21]
	global_load_dwordx2 v[4:5], v30, s[6:7] offset:16
	s_mov_b64 s[22:23], exec
	v_mbcnt_lo_u32_b32 v6, s22, 0
	v_mbcnt_hi_u32_b32 v6, s23, v6
	v_cmp_eq_u32_e32 vcc, 0, v6
	s_and_saveexec_b64 s[20:21], vcc
	s_cbranch_execz .LBB2_98
; %bb.97:                               ;   in Loop: Header=BB2_28 Depth=1
	s_bcnt1_i32_b64 s22, s[22:23]
	v_mov_b32_e32 v29, s22
	s_waitcnt vmcnt(0)
	global_atomic_add_x2 v[4:5], v[29:30], off offset:8
.LBB2_98:                               ;   in Loop: Header=BB2_28 Depth=1
	s_or_b64 exec, exec, s[20:21]
	s_waitcnt vmcnt(0)
	global_load_dwordx2 v[6:7], v[4:5], off offset:16
	s_waitcnt vmcnt(0)
	v_cmp_eq_u64_e32 vcc, 0, v[6:7]
	s_cbranch_vccnz .LBB2_100
; %bb.99:                               ;   in Loop: Header=BB2_28 Depth=1
	global_load_dword v29, v[4:5], off offset:24
	s_waitcnt vmcnt(0)
	v_readfirstlane_b32 s20, v29
	s_and_b32 m0, s20, 0xffffff
	global_store_dwordx2 v[6:7], v[29:30], off
	s_sendmsg sendmsg(MSG_INTERRUPT)
.LBB2_100:                              ;   in Loop: Header=BB2_28 Depth=1
	s_or_b64 exec, exec, s[18:19]
	v_add_co_u32_e32 v4, vcc, v28, v1
	v_addc_co_u32_e32 v5, vcc, 0, v35, vcc
	s_branch .LBB2_104
.LBB2_101:                              ;   in Loop: Header=BB2_104 Depth=2
	s_or_b64 exec, exec, s[18:19]
	v_readfirstlane_b32 s18, v6
	s_cmp_eq_u32 s18, 0
	s_cbranch_scc1 .LBB2_103
; %bb.102:                              ;   in Loop: Header=BB2_104 Depth=2
	s_sleep 1
	s_cbranch_execnz .LBB2_104
	s_branch .LBB2_106
.LBB2_103:                              ;   in Loop: Header=BB2_28 Depth=1
	s_branch .LBB2_106
.LBB2_104:                              ;   Parent Loop BB2_28 Depth=1
                                        ; =>  This Inner Loop Header: Depth=2
	v_mov_b32_e32 v6, 1
	s_and_saveexec_b64 s[18:19], s[4:5]
	s_cbranch_execz .LBB2_101
; %bb.105:                              ;   in Loop: Header=BB2_104 Depth=2
	global_load_dword v6, v[31:32], off offset:20 glc
	s_waitcnt vmcnt(0)
	buffer_wbinvl1_vol
	v_and_b32_e32 v6, 1, v6
	s_branch .LBB2_101
.LBB2_106:                              ;   in Loop: Header=BB2_28 Depth=1
	global_load_dwordx2 v[4:5], v[4:5], off
	s_and_saveexec_b64 s[18:19], s[4:5]
	s_cbranch_execz .LBB2_27
; %bb.107:                              ;   in Loop: Header=BB2_28 Depth=1
	global_load_dwordx2 v[6:7], v30, s[6:7] offset:40
	global_load_dwordx2 v[18:19], v30, s[6:7] offset:24 glc
	global_load_dwordx2 v[10:11], v30, s[6:7]
	s_waitcnt vmcnt(2)
	v_readfirstlane_b32 s20, v6
	v_readfirstlane_b32 s21, v7
	s_add_u32 s22, s20, 1
	s_addc_u32 s23, s21, 0
	s_add_u32 s4, s22, s16
	s_addc_u32 s5, s23, s17
	s_cmp_eq_u64 s[4:5], 0
	s_cselect_b32 s5, s23, s5
	s_cselect_b32 s4, s22, s4
	s_and_b64 s[16:17], s[4:5], s[20:21]
	s_mul_i32 s17, s17, 24
	s_mul_hi_u32 s20, s16, 24
	s_mul_i32 s16, s16, 24
	s_add_i32 s17, s20, s17
	v_mov_b32_e32 v7, s17
	s_waitcnt vmcnt(0)
	v_add_co_u32_e32 v6, vcc, s16, v10
	v_addc_co_u32_e32 v7, vcc, v11, v7, vcc
	v_mov_b32_e32 v16, s4
	global_store_dwordx2 v[6:7], v[18:19], off
	v_mov_b32_e32 v17, s5
	s_waitcnt vmcnt(0)
	global_atomic_cmpswap_x2 v[16:17], v30, v[16:19], s[6:7] offset:24 glc
	s_waitcnt vmcnt(0)
	v_cmp_ne_u64_e32 vcc, v[16:17], v[18:19]
	s_and_b64 exec, exec, vcc
	s_cbranch_execz .LBB2_27
; %bb.108:                              ;   in Loop: Header=BB2_28 Depth=1
	s_mov_b64 s[16:17], 0
.LBB2_109:                              ;   Parent Loop BB2_28 Depth=1
                                        ; =>  This Inner Loop Header: Depth=2
	s_sleep 1
	global_store_dwordx2 v[6:7], v[16:17], off
	v_mov_b32_e32 v14, s4
	v_mov_b32_e32 v15, s5
	s_waitcnt vmcnt(0)
	global_atomic_cmpswap_x2 v[10:11], v30, v[14:17], s[6:7] offset:24 glc
	s_waitcnt vmcnt(0)
	v_cmp_eq_u64_e32 vcc, v[10:11], v[16:17]
	v_mov_b32_e32 v17, v11
	s_or_b64 s[16:17], vcc, s[16:17]
	v_mov_b32_e32 v16, v10
	s_andn2_b64 exec, exec, s[16:17]
	s_cbranch_execnz .LBB2_109
	s_branch .LBB2_27
.LBB2_110:
                                        ; implicit-def: $vgpr4_vgpr5
	s_cbranch_execnz .LBB2_112
	s_branch .LBB2_138
.LBB2_111:
	s_branch .LBB2_138
.LBB2_112:
	v_readfirstlane_b32 s4, v33
	v_mov_b32_e32 v11, 0
	v_mov_b32_e32 v12, 0
	v_cmp_eq_u32_e64 s[4:5], s4, v33
	s_and_saveexec_b64 s[10:11], s[4:5]
	s_cbranch_execz .LBB2_118
; %bb.113:
	s_waitcnt vmcnt(0)
	v_mov_b32_e32 v4, 0
	global_load_dwordx2 v[13:14], v4, s[6:7] offset:24 glc
	s_waitcnt vmcnt(0)
	buffer_wbinvl1_vol
	global_load_dwordx2 v[5:6], v4, s[6:7] offset:40
	global_load_dwordx2 v[10:11], v4, s[6:7]
	s_waitcnt vmcnt(1)
	v_and_b32_e32 v5, v5, v13
	v_and_b32_e32 v6, v6, v14
	v_mul_lo_u32 v6, v6, 24
	v_mul_hi_u32 v7, v5, 24
	v_mul_lo_u32 v5, v5, 24
	v_add_u32_e32 v6, v7, v6
	s_waitcnt vmcnt(0)
	v_add_co_u32_e32 v5, vcc, v10, v5
	v_addc_co_u32_e32 v6, vcc, v11, v6, vcc
	global_load_dwordx2 v[11:12], v[5:6], off glc
	s_waitcnt vmcnt(0)
	global_atomic_cmpswap_x2 v[11:12], v4, v[11:14], s[6:7] offset:24 glc
	s_waitcnt vmcnt(0)
	buffer_wbinvl1_vol
	v_cmp_ne_u64_e32 vcc, v[11:12], v[13:14]
	s_and_saveexec_b64 s[12:13], vcc
	s_cbranch_execz .LBB2_117
; %bb.114:
	s_mov_b64 s[14:15], 0
.LBB2_115:                              ; =>This Inner Loop Header: Depth=1
	s_sleep 1
	global_load_dwordx2 v[5:6], v4, s[6:7] offset:40
	global_load_dwordx2 v[15:16], v4, s[6:7]
	v_mov_b32_e32 v14, v12
	v_mov_b32_e32 v13, v11
	s_waitcnt vmcnt(1)
	v_and_b32_e32 v5, v5, v13
	s_waitcnt vmcnt(0)
	v_mad_u64_u32 v[10:11], s[16:17], v5, 24, v[15:16]
	v_and_b32_e32 v6, v6, v14
	v_mov_b32_e32 v5, v11
	v_mad_u64_u32 v[5:6], s[16:17], v6, 24, v[5:6]
	v_mov_b32_e32 v11, v5
	global_load_dwordx2 v[11:12], v[10:11], off glc
	s_waitcnt vmcnt(0)
	global_atomic_cmpswap_x2 v[11:12], v4, v[11:14], s[6:7] offset:24 glc
	s_waitcnt vmcnt(0)
	buffer_wbinvl1_vol
	v_cmp_eq_u64_e32 vcc, v[11:12], v[13:14]
	s_or_b64 s[14:15], vcc, s[14:15]
	s_andn2_b64 exec, exec, s[14:15]
	s_cbranch_execnz .LBB2_115
; %bb.116:
	s_or_b64 exec, exec, s[14:15]
.LBB2_117:
	s_or_b64 exec, exec, s[12:13]
.LBB2_118:
	s_or_b64 exec, exec, s[10:11]
	v_mov_b32_e32 v10, 0
	global_load_dwordx2 v[13:14], v10, s[6:7] offset:40
	global_load_dwordx4 v[4:7], v10, s[6:7]
	v_readfirstlane_b32 s11, v12
	v_readfirstlane_b32 s10, v11
	s_mov_b64 s[12:13], exec
	s_waitcnt vmcnt(1)
	v_readfirstlane_b32 s14, v13
	v_readfirstlane_b32 s15, v14
	s_and_b64 s[14:15], s[14:15], s[10:11]
	s_mul_i32 s16, s15, 24
	s_mul_hi_u32 s17, s14, 24
	s_mul_i32 s18, s14, 24
	s_add_i32 s16, s17, s16
	v_mov_b32_e32 v11, s16
	s_waitcnt vmcnt(0)
	v_add_co_u32_e32 v12, vcc, s18, v4
	v_addc_co_u32_e32 v13, vcc, v5, v11, vcc
	s_and_saveexec_b64 s[16:17], s[4:5]
	s_cbranch_execz .LBB2_120
; %bb.119:
	v_mov_b32_e32 v15, s13
	v_mov_b32_e32 v14, s12
	;; [unrolled: 1-line block ×4, first 2 shown]
	global_store_dwordx4 v[12:13], v[14:17], off offset:8
.LBB2_120:
	s_or_b64 exec, exec, s[16:17]
	s_lshl_b64 s[12:13], s[14:15], 12
	v_mov_b32_e32 v11, s13
	v_add_co_u32_e32 v6, vcc, s12, v6
	v_addc_co_u32_e32 v7, vcc, v7, v11, vcc
	s_movk_i32 s12, 0xff1f
	v_and_or_b32 v8, v8, s12, 32
	v_add_co_u32_e32 v14, vcc, v6, v1
	s_mov_b32 s12, 0
	v_mov_b32_e32 v11, v10
	v_readfirstlane_b32 s16, v6
	v_readfirstlane_b32 s17, v7
	v_addc_co_u32_e32 v15, vcc, 0, v7, vcc
	s_mov_b32 s13, s12
	s_mov_b32 s14, s12
	;; [unrolled: 1-line block ×3, first 2 shown]
	s_nop 0
	global_store_dwordx4 v1, v[8:11], s[16:17]
	v_mov_b32_e32 v6, s12
	v_mov_b32_e32 v7, s13
	;; [unrolled: 1-line block ×4, first 2 shown]
	global_store_dwordx4 v1, v[6:9], s[16:17] offset:16
	global_store_dwordx4 v1, v[6:9], s[16:17] offset:32
	;; [unrolled: 1-line block ×3, first 2 shown]
	s_and_saveexec_b64 s[12:13], s[4:5]
	s_cbranch_execz .LBB2_128
; %bb.121:
	v_mov_b32_e32 v10, 0
	global_load_dwordx2 v[18:19], v10, s[6:7] offset:32 glc
	global_load_dwordx2 v[6:7], v10, s[6:7] offset:40
	v_mov_b32_e32 v16, s10
	v_mov_b32_e32 v17, s11
	s_waitcnt vmcnt(0)
	v_readfirstlane_b32 s14, v6
	v_readfirstlane_b32 s15, v7
	s_and_b64 s[14:15], s[14:15], s[10:11]
	s_mul_i32 s15, s15, 24
	s_mul_hi_u32 s16, s14, 24
	s_mul_i32 s14, s14, 24
	s_add_i32 s15, s16, s15
	v_mov_b32_e32 v6, s15
	v_add_co_u32_e32 v8, vcc, s14, v4
	v_addc_co_u32_e32 v9, vcc, v5, v6, vcc
	global_store_dwordx2 v[8:9], v[18:19], off
	s_waitcnt vmcnt(0)
	global_atomic_cmpswap_x2 v[6:7], v10, v[16:19], s[6:7] offset:32 glc
	s_waitcnt vmcnt(0)
	v_cmp_ne_u64_e32 vcc, v[6:7], v[18:19]
	s_and_saveexec_b64 s[14:15], vcc
	s_cbranch_execz .LBB2_124
; %bb.122:
	s_mov_b64 s[16:17], 0
.LBB2_123:                              ; =>This Inner Loop Header: Depth=1
	s_sleep 1
	global_store_dwordx2 v[8:9], v[6:7], off
	v_mov_b32_e32 v4, s10
	v_mov_b32_e32 v5, s11
	s_waitcnt vmcnt(0)
	global_atomic_cmpswap_x2 v[4:5], v10, v[4:7], s[6:7] offset:32 glc
	s_waitcnt vmcnt(0)
	v_cmp_eq_u64_e32 vcc, v[4:5], v[6:7]
	v_mov_b32_e32 v7, v5
	s_or_b64 s[16:17], vcc, s[16:17]
	v_mov_b32_e32 v6, v4
	s_andn2_b64 exec, exec, s[16:17]
	s_cbranch_execnz .LBB2_123
.LBB2_124:
	s_or_b64 exec, exec, s[14:15]
	v_mov_b32_e32 v7, 0
	global_load_dwordx2 v[4:5], v7, s[6:7] offset:16
	s_mov_b64 s[14:15], exec
	v_mbcnt_lo_u32_b32 v6, s14, 0
	v_mbcnt_hi_u32_b32 v6, s15, v6
	v_cmp_eq_u32_e32 vcc, 0, v6
	s_and_saveexec_b64 s[16:17], vcc
	s_cbranch_execz .LBB2_126
; %bb.125:
	s_bcnt1_i32_b64 s14, s[14:15]
	v_mov_b32_e32 v6, s14
	s_waitcnt vmcnt(0)
	global_atomic_add_x2 v[4:5], v[6:7], off offset:8
.LBB2_126:
	s_or_b64 exec, exec, s[16:17]
	s_waitcnt vmcnt(0)
	global_load_dwordx2 v[6:7], v[4:5], off offset:16
	s_waitcnt vmcnt(0)
	v_cmp_eq_u64_e32 vcc, 0, v[6:7]
	s_cbranch_vccnz .LBB2_128
; %bb.127:
	global_load_dword v4, v[4:5], off offset:24
	v_mov_b32_e32 v5, 0
	s_waitcnt vmcnt(0)
	v_readfirstlane_b32 s14, v4
	s_and_b32 m0, s14, 0xffffff
	global_store_dwordx2 v[6:7], v[4:5], off
	s_sendmsg sendmsg(MSG_INTERRUPT)
.LBB2_128:
	s_or_b64 exec, exec, s[12:13]
	s_branch .LBB2_132
.LBB2_129:                              ;   in Loop: Header=BB2_132 Depth=1
	s_or_b64 exec, exec, s[12:13]
	v_readfirstlane_b32 s12, v4
	s_cmp_eq_u32 s12, 0
	s_cbranch_scc1 .LBB2_131
; %bb.130:                              ;   in Loop: Header=BB2_132 Depth=1
	s_sleep 1
	s_cbranch_execnz .LBB2_132
	s_branch .LBB2_134
.LBB2_131:
	s_branch .LBB2_134
.LBB2_132:                              ; =>This Inner Loop Header: Depth=1
	v_mov_b32_e32 v4, 1
	s_and_saveexec_b64 s[12:13], s[4:5]
	s_cbranch_execz .LBB2_129
; %bb.133:                              ;   in Loop: Header=BB2_132 Depth=1
	global_load_dword v4, v[12:13], off offset:20 glc
	s_waitcnt vmcnt(0)
	buffer_wbinvl1_vol
	v_and_b32_e32 v4, 1, v4
	s_branch .LBB2_129
.LBB2_134:
	global_load_dwordx2 v[4:5], v[14:15], off
	s_and_saveexec_b64 s[12:13], s[4:5]
	s_cbranch_execz .LBB2_137
; %bb.135:
	v_mov_b32_e32 v12, 0
	global_load_dwordx2 v[6:7], v12, s[6:7] offset:40
	global_load_dwordx2 v[15:16], v12, s[6:7] offset:24 glc
	global_load_dwordx2 v[8:9], v12, s[6:7]
	s_waitcnt vmcnt(2)
	v_readfirstlane_b32 s14, v6
	v_readfirstlane_b32 s15, v7
	s_add_u32 s16, s14, 1
	s_addc_u32 s17, s15, 0
	s_add_u32 s4, s16, s10
	s_addc_u32 s5, s17, s11
	s_cmp_eq_u64 s[4:5], 0
	s_cselect_b32 s5, s17, s5
	s_cselect_b32 s4, s16, s4
	s_and_b64 s[10:11], s[4:5], s[14:15]
	s_mul_i32 s11, s11, 24
	s_mul_hi_u32 s14, s10, 24
	s_mul_i32 s10, s10, 24
	s_add_i32 s11, s14, s11
	v_mov_b32_e32 v6, s11
	s_waitcnt vmcnt(0)
	v_add_co_u32_e32 v10, vcc, s10, v8
	v_addc_co_u32_e32 v11, vcc, v9, v6, vcc
	v_mov_b32_e32 v13, s4
	global_store_dwordx2 v[10:11], v[15:16], off
	v_mov_b32_e32 v14, s5
	s_waitcnt vmcnt(0)
	global_atomic_cmpswap_x2 v[8:9], v12, v[13:16], s[6:7] offset:24 glc
	s_mov_b64 s[10:11], 0
	s_waitcnt vmcnt(0)
	v_cmp_ne_u64_e32 vcc, v[8:9], v[15:16]
	s_and_b64 exec, exec, vcc
	s_cbranch_execz .LBB2_137
.LBB2_136:                              ; =>This Inner Loop Header: Depth=1
	s_sleep 1
	global_store_dwordx2 v[10:11], v[8:9], off
	v_mov_b32_e32 v6, s4
	v_mov_b32_e32 v7, s5
	s_waitcnt vmcnt(0)
	global_atomic_cmpswap_x2 v[6:7], v12, v[6:9], s[6:7] offset:24 glc
	s_waitcnt vmcnt(0)
	v_cmp_eq_u64_e32 vcc, v[6:7], v[8:9]
	v_mov_b32_e32 v9, v7
	s_or_b64 s[10:11], vcc, s[10:11]
	v_mov_b32_e32 v8, v6
	s_andn2_b64 exec, exec, s[10:11]
	s_cbranch_execnz .LBB2_136
.LBB2_137:
	s_or_b64 exec, exec, s[12:13]
.LBB2_138:
	s_getpc_b64 s[10:11]
	s_add_u32 s10, s10, .str@rel32@lo+4
	s_addc_u32 s11, s11, .str@rel32@hi+12
	s_cmp_lg_u64 s[10:11], 0
	s_cselect_b64 s[4:5], -1, 0
	s_cmp_eq_u64 s[10:11], 0
	s_mov_b64 s[10:11], 0
	s_cbranch_scc1 .LBB2_142
; %bb.139:
	v_mov_b32_e32 v6, 0
	s_getpc_b64 s[10:11]
	s_add_u32 s10, s10, .str@rel32@lo+3
	s_addc_u32 s11, s11, .str@rel32@hi+11
.LBB2_140:                              ; =>This Inner Loop Header: Depth=1
	global_load_ubyte v7, v6, s[10:11] offset:1
	s_add_u32 s12, s10, 1
	s_addc_u32 s13, s11, 0
	s_mov_b64 s[10:11], s[12:13]
	s_waitcnt vmcnt(0)
	v_cmp_ne_u32_e32 vcc, 0, v7
	s_cbranch_vccnz .LBB2_140
; %bb.141:
	s_getpc_b64 s[10:11]
	s_add_u32 s10, s10, .str@rel32@lo+4
	s_addc_u32 s11, s11, .str@rel32@hi+12
	s_sub_u32 s10, s12, s10
	s_subb_u32 s11, s13, s11
	s_add_u32 s10, s10, 1
	s_addc_u32 s11, s11, 0
.LBB2_142:
	s_and_b64 vcc, exec, s[4:5]
	s_cbranch_vccz .LBB2_227
; %bb.143:
	s_waitcnt vmcnt(0)
	v_and_b32_e32 v34, 2, v4
	v_mov_b32_e32 v30, 0
	v_and_b32_e32 v6, -3, v4
	v_mov_b32_e32 v7, v5
	v_mov_b32_e32 v12, 2
	;; [unrolled: 1-line block ×3, first 2 shown]
	s_getpc_b64 s[12:13]
	s_add_u32 s12, s12, .str@rel32@lo+4
	s_addc_u32 s13, s13, .str@rel32@hi+12
	s_branch .LBB2_145
.LBB2_144:                              ;   in Loop: Header=BB2_145 Depth=1
	s_or_b64 exec, exec, s[18:19]
	s_sub_u32 s10, s10, s14
	s_subb_u32 s11, s11, s15
	s_add_u32 s12, s12, s14
	s_addc_u32 s13, s13, s15
	s_cmp_lg_u64 s[10:11], 0
	s_cbranch_scc0 .LBB2_228
.LBB2_145:                              ; =>This Loop Header: Depth=1
                                        ;     Child Loop BB2_148 Depth 2
                                        ;     Child Loop BB2_156 Depth 2
	;; [unrolled: 1-line block ×11, first 2 shown]
	v_cmp_lt_u64_e64 s[4:5], s[10:11], 56
	v_cmp_gt_u64_e64 s[16:17], s[10:11], 7
	s_and_b64 s[4:5], s[4:5], exec
	s_cselect_b32 s15, s11, 0
	s_cselect_b32 s14, s10, 56
	s_add_u32 s4, s12, 8
	s_addc_u32 s5, s13, 0
	s_and_b64 vcc, exec, s[16:17]
	s_cbranch_vccnz .LBB2_149
; %bb.146:                              ;   in Loop: Header=BB2_145 Depth=1
	s_cmp_eq_u64 s[10:11], 0
	s_cbranch_scc1 .LBB2_150
; %bb.147:                              ;   in Loop: Header=BB2_145 Depth=1
	v_mov_b32_e32 v8, 0
	s_lshl_b64 s[4:5], s[14:15], 3
	s_mov_b64 s[16:17], 0
	v_mov_b32_e32 v9, 0
	s_mov_b64 s[18:19], s[12:13]
.LBB2_148:                              ;   Parent Loop BB2_145 Depth=1
                                        ; =>  This Inner Loop Header: Depth=2
	global_load_ubyte v10, v30, s[18:19]
	s_waitcnt vmcnt(0)
	v_and_b32_e32 v29, 0xffff, v10
	v_lshlrev_b64 v[10:11], s16, v[29:30]
	s_add_u32 s16, s16, 8
	s_addc_u32 s17, s17, 0
	s_add_u32 s18, s18, 1
	s_addc_u32 s19, s19, 0
	v_or_b32_e32 v8, v10, v8
	s_cmp_lg_u32 s4, s16
	v_or_b32_e32 v9, v11, v9
	s_cbranch_scc1 .LBB2_148
	s_branch .LBB2_151
.LBB2_149:                              ;   in Loop: Header=BB2_145 Depth=1
	s_mov_b32 s20, 0
	s_branch .LBB2_152
.LBB2_150:                              ;   in Loop: Header=BB2_145 Depth=1
	v_mov_b32_e32 v8, 0
	v_mov_b32_e32 v9, 0
.LBB2_151:                              ;   in Loop: Header=BB2_145 Depth=1
	s_mov_b64 s[4:5], s[12:13]
	s_mov_b32 s20, 0
	s_cbranch_execnz .LBB2_153
.LBB2_152:                              ;   in Loop: Header=BB2_145 Depth=1
	global_load_dwordx2 v[8:9], v30, s[12:13]
	s_add_i32 s20, s14, -8
.LBB2_153:                              ;   in Loop: Header=BB2_145 Depth=1
	s_add_u32 s16, s4, 8
	s_addc_u32 s17, s5, 0
	s_cmp_gt_u32 s20, 7
	s_cbranch_scc1 .LBB2_157
; %bb.154:                              ;   in Loop: Header=BB2_145 Depth=1
	s_cmp_eq_u32 s20, 0
	s_cbranch_scc1 .LBB2_158
; %bb.155:                              ;   in Loop: Header=BB2_145 Depth=1
	v_mov_b32_e32 v14, 0
	s_mov_b64 s[16:17], 0
	v_mov_b32_e32 v15, 0
	s_mov_b64 s[18:19], 0
.LBB2_156:                              ;   Parent Loop BB2_145 Depth=1
                                        ; =>  This Inner Loop Header: Depth=2
	s_add_u32 s22, s4, s18
	s_addc_u32 s23, s5, s19
	global_load_ubyte v10, v30, s[22:23]
	s_add_u32 s18, s18, 1
	s_addc_u32 s19, s19, 0
	s_waitcnt vmcnt(0)
	v_and_b32_e32 v29, 0xffff, v10
	v_lshlrev_b64 v[10:11], s16, v[29:30]
	s_add_u32 s16, s16, 8
	s_addc_u32 s17, s17, 0
	v_or_b32_e32 v14, v10, v14
	s_cmp_lg_u32 s20, s18
	v_or_b32_e32 v15, v11, v15
	s_cbranch_scc1 .LBB2_156
	s_branch .LBB2_159
.LBB2_157:                              ;   in Loop: Header=BB2_145 Depth=1
                                        ; implicit-def: $vgpr14_vgpr15
	s_mov_b32 s21, 0
	s_branch .LBB2_160
.LBB2_158:                              ;   in Loop: Header=BB2_145 Depth=1
	v_mov_b32_e32 v14, 0
	v_mov_b32_e32 v15, 0
.LBB2_159:                              ;   in Loop: Header=BB2_145 Depth=1
	s_mov_b64 s[16:17], s[4:5]
	s_mov_b32 s21, 0
	s_cbranch_execnz .LBB2_161
.LBB2_160:                              ;   in Loop: Header=BB2_145 Depth=1
	global_load_dwordx2 v[14:15], v30, s[4:5]
	s_add_i32 s21, s20, -8
.LBB2_161:                              ;   in Loop: Header=BB2_145 Depth=1
	s_add_u32 s4, s16, 8
	s_addc_u32 s5, s17, 0
	s_cmp_gt_u32 s21, 7
	s_cbranch_scc1 .LBB2_165
; %bb.162:                              ;   in Loop: Header=BB2_145 Depth=1
	s_cmp_eq_u32 s21, 0
	s_cbranch_scc1 .LBB2_166
; %bb.163:                              ;   in Loop: Header=BB2_145 Depth=1
	v_mov_b32_e32 v16, 0
	s_mov_b64 s[4:5], 0
	v_mov_b32_e32 v17, 0
	s_mov_b64 s[18:19], 0
.LBB2_164:                              ;   Parent Loop BB2_145 Depth=1
                                        ; =>  This Inner Loop Header: Depth=2
	s_add_u32 s22, s16, s18
	s_addc_u32 s23, s17, s19
	global_load_ubyte v10, v30, s[22:23]
	s_add_u32 s18, s18, 1
	s_addc_u32 s19, s19, 0
	s_waitcnt vmcnt(0)
	v_and_b32_e32 v29, 0xffff, v10
	v_lshlrev_b64 v[10:11], s4, v[29:30]
	s_add_u32 s4, s4, 8
	s_addc_u32 s5, s5, 0
	v_or_b32_e32 v16, v10, v16
	s_cmp_lg_u32 s21, s18
	v_or_b32_e32 v17, v11, v17
	s_cbranch_scc1 .LBB2_164
	s_branch .LBB2_167
.LBB2_165:                              ;   in Loop: Header=BB2_145 Depth=1
	s_mov_b32 s20, 0
	s_branch .LBB2_168
.LBB2_166:                              ;   in Loop: Header=BB2_145 Depth=1
	v_mov_b32_e32 v16, 0
	v_mov_b32_e32 v17, 0
.LBB2_167:                              ;   in Loop: Header=BB2_145 Depth=1
	s_mov_b64 s[4:5], s[16:17]
	s_mov_b32 s20, 0
	s_cbranch_execnz .LBB2_169
.LBB2_168:                              ;   in Loop: Header=BB2_145 Depth=1
	global_load_dwordx2 v[16:17], v30, s[16:17]
	s_add_i32 s20, s21, -8
.LBB2_169:                              ;   in Loop: Header=BB2_145 Depth=1
	s_add_u32 s16, s4, 8
	s_addc_u32 s17, s5, 0
	s_cmp_gt_u32 s20, 7
	s_cbranch_scc1 .LBB2_173
; %bb.170:                              ;   in Loop: Header=BB2_145 Depth=1
	s_cmp_eq_u32 s20, 0
	s_cbranch_scc1 .LBB2_174
; %bb.171:                              ;   in Loop: Header=BB2_145 Depth=1
	v_mov_b32_e32 v18, 0
	s_mov_b64 s[16:17], 0
	v_mov_b32_e32 v19, 0
	s_mov_b64 s[18:19], 0
.LBB2_172:                              ;   Parent Loop BB2_145 Depth=1
                                        ; =>  This Inner Loop Header: Depth=2
	s_add_u32 s22, s4, s18
	s_addc_u32 s23, s5, s19
	global_load_ubyte v10, v30, s[22:23]
	s_add_u32 s18, s18, 1
	s_addc_u32 s19, s19, 0
	s_waitcnt vmcnt(0)
	v_and_b32_e32 v29, 0xffff, v10
	v_lshlrev_b64 v[10:11], s16, v[29:30]
	s_add_u32 s16, s16, 8
	s_addc_u32 s17, s17, 0
	v_or_b32_e32 v18, v10, v18
	s_cmp_lg_u32 s20, s18
	v_or_b32_e32 v19, v11, v19
	s_cbranch_scc1 .LBB2_172
	s_branch .LBB2_175
.LBB2_173:                              ;   in Loop: Header=BB2_145 Depth=1
                                        ; implicit-def: $vgpr18_vgpr19
	s_mov_b32 s21, 0
	s_branch .LBB2_176
.LBB2_174:                              ;   in Loop: Header=BB2_145 Depth=1
	v_mov_b32_e32 v18, 0
	v_mov_b32_e32 v19, 0
.LBB2_175:                              ;   in Loop: Header=BB2_145 Depth=1
	s_mov_b64 s[16:17], s[4:5]
	s_mov_b32 s21, 0
	s_cbranch_execnz .LBB2_177
.LBB2_176:                              ;   in Loop: Header=BB2_145 Depth=1
	global_load_dwordx2 v[18:19], v30, s[4:5]
	s_add_i32 s21, s20, -8
.LBB2_177:                              ;   in Loop: Header=BB2_145 Depth=1
	s_add_u32 s4, s16, 8
	s_addc_u32 s5, s17, 0
	s_cmp_gt_u32 s21, 7
	s_cbranch_scc1 .LBB2_181
; %bb.178:                              ;   in Loop: Header=BB2_145 Depth=1
	s_cmp_eq_u32 s21, 0
	s_cbranch_scc1 .LBB2_182
; %bb.179:                              ;   in Loop: Header=BB2_145 Depth=1
	v_mov_b32_e32 v20, 0
	s_mov_b64 s[4:5], 0
	v_mov_b32_e32 v21, 0
	s_mov_b64 s[18:19], 0
.LBB2_180:                              ;   Parent Loop BB2_145 Depth=1
                                        ; =>  This Inner Loop Header: Depth=2
	s_add_u32 s22, s16, s18
	s_addc_u32 s23, s17, s19
	global_load_ubyte v10, v30, s[22:23]
	s_add_u32 s18, s18, 1
	s_addc_u32 s19, s19, 0
	s_waitcnt vmcnt(0)
	v_and_b32_e32 v29, 0xffff, v10
	v_lshlrev_b64 v[10:11], s4, v[29:30]
	s_add_u32 s4, s4, 8
	s_addc_u32 s5, s5, 0
	v_or_b32_e32 v20, v10, v20
	s_cmp_lg_u32 s21, s18
	v_or_b32_e32 v21, v11, v21
	s_cbranch_scc1 .LBB2_180
	s_branch .LBB2_183
.LBB2_181:                              ;   in Loop: Header=BB2_145 Depth=1
	s_mov_b32 s20, 0
	s_branch .LBB2_184
.LBB2_182:                              ;   in Loop: Header=BB2_145 Depth=1
	v_mov_b32_e32 v20, 0
	v_mov_b32_e32 v21, 0
.LBB2_183:                              ;   in Loop: Header=BB2_145 Depth=1
	s_mov_b64 s[4:5], s[16:17]
	s_mov_b32 s20, 0
	s_cbranch_execnz .LBB2_185
.LBB2_184:                              ;   in Loop: Header=BB2_145 Depth=1
	global_load_dwordx2 v[20:21], v30, s[16:17]
	s_add_i32 s20, s21, -8
.LBB2_185:                              ;   in Loop: Header=BB2_145 Depth=1
	s_add_u32 s16, s4, 8
	s_addc_u32 s17, s5, 0
	s_cmp_gt_u32 s20, 7
	s_cbranch_scc1 .LBB2_189
; %bb.186:                              ;   in Loop: Header=BB2_145 Depth=1
	s_cmp_eq_u32 s20, 0
	s_cbranch_scc1 .LBB2_190
; %bb.187:                              ;   in Loop: Header=BB2_145 Depth=1
	v_mov_b32_e32 v22, 0
	s_mov_b64 s[16:17], 0
	v_mov_b32_e32 v23, 0
	s_mov_b64 s[18:19], 0
.LBB2_188:                              ;   Parent Loop BB2_145 Depth=1
                                        ; =>  This Inner Loop Header: Depth=2
	s_add_u32 s22, s4, s18
	s_addc_u32 s23, s5, s19
	global_load_ubyte v10, v30, s[22:23]
	s_add_u32 s18, s18, 1
	s_addc_u32 s19, s19, 0
	s_waitcnt vmcnt(0)
	v_and_b32_e32 v29, 0xffff, v10
	v_lshlrev_b64 v[10:11], s16, v[29:30]
	s_add_u32 s16, s16, 8
	s_addc_u32 s17, s17, 0
	v_or_b32_e32 v22, v10, v22
	s_cmp_lg_u32 s20, s18
	v_or_b32_e32 v23, v11, v23
	s_cbranch_scc1 .LBB2_188
	s_branch .LBB2_191
.LBB2_189:                              ;   in Loop: Header=BB2_145 Depth=1
                                        ; implicit-def: $vgpr22_vgpr23
	s_mov_b32 s21, 0
	s_branch .LBB2_192
.LBB2_190:                              ;   in Loop: Header=BB2_145 Depth=1
	v_mov_b32_e32 v22, 0
	v_mov_b32_e32 v23, 0
.LBB2_191:                              ;   in Loop: Header=BB2_145 Depth=1
	s_mov_b64 s[16:17], s[4:5]
	s_mov_b32 s21, 0
	s_cbranch_execnz .LBB2_193
.LBB2_192:                              ;   in Loop: Header=BB2_145 Depth=1
	global_load_dwordx2 v[22:23], v30, s[4:5]
	s_add_i32 s21, s20, -8
.LBB2_193:                              ;   in Loop: Header=BB2_145 Depth=1
	s_cmp_gt_u32 s21, 7
	s_cbranch_scc1 .LBB2_197
; %bb.194:                              ;   in Loop: Header=BB2_145 Depth=1
	s_cmp_eq_u32 s21, 0
	s_cbranch_scc1 .LBB2_198
; %bb.195:                              ;   in Loop: Header=BB2_145 Depth=1
	v_mov_b32_e32 v24, 0
	s_mov_b64 s[4:5], 0
	v_mov_b32_e32 v25, 0
	s_mov_b64 s[18:19], s[16:17]
.LBB2_196:                              ;   Parent Loop BB2_145 Depth=1
                                        ; =>  This Inner Loop Header: Depth=2
	global_load_ubyte v10, v30, s[18:19]
	s_add_i32 s21, s21, -1
	s_waitcnt vmcnt(0)
	v_and_b32_e32 v29, 0xffff, v10
	v_lshlrev_b64 v[10:11], s4, v[29:30]
	s_add_u32 s4, s4, 8
	s_addc_u32 s5, s5, 0
	s_add_u32 s18, s18, 1
	s_addc_u32 s19, s19, 0
	v_or_b32_e32 v24, v10, v24
	s_cmp_lg_u32 s21, 0
	v_or_b32_e32 v25, v11, v25
	s_cbranch_scc1 .LBB2_196
	s_branch .LBB2_199
.LBB2_197:                              ;   in Loop: Header=BB2_145 Depth=1
	s_branch .LBB2_200
.LBB2_198:                              ;   in Loop: Header=BB2_145 Depth=1
	v_mov_b32_e32 v24, 0
	v_mov_b32_e32 v25, 0
.LBB2_199:                              ;   in Loop: Header=BB2_145 Depth=1
	s_cbranch_execnz .LBB2_201
.LBB2_200:                              ;   in Loop: Header=BB2_145 Depth=1
	global_load_dwordx2 v[24:25], v30, s[16:17]
.LBB2_201:                              ;   in Loop: Header=BB2_145 Depth=1
	v_readfirstlane_b32 s4, v33
	v_mov_b32_e32 v10, 0
	v_mov_b32_e32 v11, 0
	v_cmp_eq_u32_e64 s[4:5], s4, v33
	s_and_saveexec_b64 s[16:17], s[4:5]
	s_cbranch_execz .LBB2_207
; %bb.202:                              ;   in Loop: Header=BB2_145 Depth=1
	global_load_dwordx2 v[28:29], v30, s[6:7] offset:24 glc
	s_waitcnt vmcnt(0)
	buffer_wbinvl1_vol
	global_load_dwordx2 v[10:11], v30, s[6:7] offset:40
	global_load_dwordx2 v[26:27], v30, s[6:7]
	s_waitcnt vmcnt(1)
	v_and_b32_e32 v10, v10, v28
	v_and_b32_e32 v11, v11, v29
	v_mul_lo_u32 v11, v11, 24
	v_mul_hi_u32 v31, v10, 24
	v_mul_lo_u32 v10, v10, 24
	v_add_u32_e32 v11, v31, v11
	s_waitcnt vmcnt(0)
	v_add_co_u32_e32 v10, vcc, v26, v10
	v_addc_co_u32_e32 v11, vcc, v27, v11, vcc
	global_load_dwordx2 v[26:27], v[10:11], off glc
	s_waitcnt vmcnt(0)
	global_atomic_cmpswap_x2 v[10:11], v30, v[26:29], s[6:7] offset:24 glc
	s_waitcnt vmcnt(0)
	buffer_wbinvl1_vol
	v_cmp_ne_u64_e32 vcc, v[10:11], v[28:29]
	s_and_saveexec_b64 s[18:19], vcc
	s_cbranch_execz .LBB2_206
; %bb.203:                              ;   in Loop: Header=BB2_145 Depth=1
	s_mov_b64 s[20:21], 0
.LBB2_204:                              ;   Parent Loop BB2_145 Depth=1
                                        ; =>  This Inner Loop Header: Depth=2
	s_sleep 1
	global_load_dwordx2 v[26:27], v30, s[6:7] offset:40
	global_load_dwordx2 v[31:32], v30, s[6:7]
	v_mov_b32_e32 v29, v11
	v_mov_b32_e32 v28, v10
	s_waitcnt vmcnt(1)
	v_and_b32_e32 v10, v26, v28
	s_waitcnt vmcnt(0)
	v_mad_u64_u32 v[10:11], s[22:23], v10, 24, v[31:32]
	v_and_b32_e32 v26, v27, v29
	v_mad_u64_u32 v[26:27], s[22:23], v26, 24, v[11:12]
	v_mov_b32_e32 v11, v26
	global_load_dwordx2 v[26:27], v[10:11], off glc
	s_waitcnt vmcnt(0)
	global_atomic_cmpswap_x2 v[10:11], v30, v[26:29], s[6:7] offset:24 glc
	s_waitcnt vmcnt(0)
	buffer_wbinvl1_vol
	v_cmp_eq_u64_e32 vcc, v[10:11], v[28:29]
	s_or_b64 s[20:21], vcc, s[20:21]
	s_andn2_b64 exec, exec, s[20:21]
	s_cbranch_execnz .LBB2_204
; %bb.205:                              ;   in Loop: Header=BB2_145 Depth=1
	s_or_b64 exec, exec, s[20:21]
.LBB2_206:                              ;   in Loop: Header=BB2_145 Depth=1
	s_or_b64 exec, exec, s[18:19]
.LBB2_207:                              ;   in Loop: Header=BB2_145 Depth=1
	s_or_b64 exec, exec, s[16:17]
	global_load_dwordx2 v[31:32], v30, s[6:7] offset:40
	global_load_dwordx4 v[26:29], v30, s[6:7]
	v_readfirstlane_b32 s17, v11
	v_readfirstlane_b32 s16, v10
	s_mov_b64 s[18:19], exec
	s_waitcnt vmcnt(1)
	v_readfirstlane_b32 s20, v31
	v_readfirstlane_b32 s21, v32
	s_and_b64 s[20:21], s[20:21], s[16:17]
	s_mul_i32 s22, s21, 24
	s_mul_hi_u32 s23, s20, 24
	s_mul_i32 s24, s20, 24
	s_add_i32 s22, s23, s22
	v_mov_b32_e32 v10, s22
	s_waitcnt vmcnt(0)
	v_add_co_u32_e32 v31, vcc, s24, v26
	v_addc_co_u32_e32 v32, vcc, v27, v10, vcc
	s_and_saveexec_b64 s[22:23], s[4:5]
	s_cbranch_execz .LBB2_209
; %bb.208:                              ;   in Loop: Header=BB2_145 Depth=1
	v_mov_b32_e32 v10, s18
	v_mov_b32_e32 v11, s19
	global_store_dwordx4 v[31:32], v[10:13], off offset:8
.LBB2_209:                              ;   in Loop: Header=BB2_145 Depth=1
	s_or_b64 exec, exec, s[22:23]
	s_lshl_b64 s[18:19], s[20:21], 12
	v_mov_b32_e32 v10, s19
	v_add_co_u32_e32 v28, vcc, s18, v28
	v_addc_co_u32_e32 v35, vcc, v29, v10, vcc
	v_cmp_lt_u64_e64 vcc, s[10:11], 57
	s_lshl_b32 s18, s14, 2
	v_cndmask_b32_e32 v10, 0, v34, vcc
	s_add_i32 s18, s18, 28
	v_and_b32_e32 v6, 0xffffff1f, v6
	s_and_b32 s18, s18, 0x1e0
	v_or_b32_e32 v6, v6, v10
	v_or_b32_e32 v6, s18, v6
	v_readfirstlane_b32 s18, v28
	v_readfirstlane_b32 s19, v35
	s_nop 4
	global_store_dwordx4 v1, v[6:9], s[18:19]
	global_store_dwordx4 v1, v[14:17], s[18:19] offset:16
	global_store_dwordx4 v1, v[18:21], s[18:19] offset:32
	;; [unrolled: 1-line block ×3, first 2 shown]
	s_and_saveexec_b64 s[18:19], s[4:5]
	s_cbranch_execz .LBB2_217
; %bb.210:                              ;   in Loop: Header=BB2_145 Depth=1
	global_load_dwordx2 v[16:17], v30, s[6:7] offset:32 glc
	global_load_dwordx2 v[6:7], v30, s[6:7] offset:40
	v_mov_b32_e32 v14, s16
	v_mov_b32_e32 v15, s17
	s_waitcnt vmcnt(0)
	v_readfirstlane_b32 s20, v6
	v_readfirstlane_b32 s21, v7
	s_and_b64 s[20:21], s[20:21], s[16:17]
	s_mul_i32 s21, s21, 24
	s_mul_hi_u32 s22, s20, 24
	s_mul_i32 s20, s20, 24
	s_add_i32 s21, s22, s21
	v_mov_b32_e32 v6, s21
	v_add_co_u32_e32 v10, vcc, s20, v26
	v_addc_co_u32_e32 v11, vcc, v27, v6, vcc
	global_store_dwordx2 v[10:11], v[16:17], off
	s_waitcnt vmcnt(0)
	global_atomic_cmpswap_x2 v[8:9], v30, v[14:17], s[6:7] offset:32 glc
	s_waitcnt vmcnt(0)
	v_cmp_ne_u64_e32 vcc, v[8:9], v[16:17]
	s_and_saveexec_b64 s[20:21], vcc
	s_cbranch_execz .LBB2_213
; %bb.211:                              ;   in Loop: Header=BB2_145 Depth=1
	s_mov_b64 s[22:23], 0
.LBB2_212:                              ;   Parent Loop BB2_145 Depth=1
                                        ; =>  This Inner Loop Header: Depth=2
	s_sleep 1
	global_store_dwordx2 v[10:11], v[8:9], off
	v_mov_b32_e32 v6, s16
	v_mov_b32_e32 v7, s17
	s_waitcnt vmcnt(0)
	global_atomic_cmpswap_x2 v[6:7], v30, v[6:9], s[6:7] offset:32 glc
	s_waitcnt vmcnt(0)
	v_cmp_eq_u64_e32 vcc, v[6:7], v[8:9]
	v_mov_b32_e32 v9, v7
	s_or_b64 s[22:23], vcc, s[22:23]
	v_mov_b32_e32 v8, v6
	s_andn2_b64 exec, exec, s[22:23]
	s_cbranch_execnz .LBB2_212
.LBB2_213:                              ;   in Loop: Header=BB2_145 Depth=1
	s_or_b64 exec, exec, s[20:21]
	global_load_dwordx2 v[6:7], v30, s[6:7] offset:16
	s_mov_b64 s[22:23], exec
	v_mbcnt_lo_u32_b32 v8, s22, 0
	v_mbcnt_hi_u32_b32 v8, s23, v8
	v_cmp_eq_u32_e32 vcc, 0, v8
	s_and_saveexec_b64 s[20:21], vcc
	s_cbranch_execz .LBB2_215
; %bb.214:                              ;   in Loop: Header=BB2_145 Depth=1
	s_bcnt1_i32_b64 s22, s[22:23]
	v_mov_b32_e32 v29, s22
	s_waitcnt vmcnt(0)
	global_atomic_add_x2 v[6:7], v[29:30], off offset:8
.LBB2_215:                              ;   in Loop: Header=BB2_145 Depth=1
	s_or_b64 exec, exec, s[20:21]
	s_waitcnt vmcnt(0)
	global_load_dwordx2 v[8:9], v[6:7], off offset:16
	s_waitcnt vmcnt(0)
	v_cmp_eq_u64_e32 vcc, 0, v[8:9]
	s_cbranch_vccnz .LBB2_217
; %bb.216:                              ;   in Loop: Header=BB2_145 Depth=1
	global_load_dword v29, v[6:7], off offset:24
	s_waitcnt vmcnt(0)
	v_readfirstlane_b32 s20, v29
	s_and_b32 m0, s20, 0xffffff
	global_store_dwordx2 v[8:9], v[29:30], off
	s_sendmsg sendmsg(MSG_INTERRUPT)
.LBB2_217:                              ;   in Loop: Header=BB2_145 Depth=1
	s_or_b64 exec, exec, s[18:19]
	v_add_co_u32_e32 v6, vcc, v28, v1
	v_addc_co_u32_e32 v7, vcc, 0, v35, vcc
	s_branch .LBB2_221
.LBB2_218:                              ;   in Loop: Header=BB2_221 Depth=2
	s_or_b64 exec, exec, s[18:19]
	v_readfirstlane_b32 s18, v8
	s_cmp_eq_u32 s18, 0
	s_cbranch_scc1 .LBB2_220
; %bb.219:                              ;   in Loop: Header=BB2_221 Depth=2
	s_sleep 1
	s_cbranch_execnz .LBB2_221
	s_branch .LBB2_223
.LBB2_220:                              ;   in Loop: Header=BB2_145 Depth=1
	s_branch .LBB2_223
.LBB2_221:                              ;   Parent Loop BB2_145 Depth=1
                                        ; =>  This Inner Loop Header: Depth=2
	v_mov_b32_e32 v8, 1
	s_and_saveexec_b64 s[18:19], s[4:5]
	s_cbranch_execz .LBB2_218
; %bb.222:                              ;   in Loop: Header=BB2_221 Depth=2
	global_load_dword v8, v[31:32], off offset:20 glc
	s_waitcnt vmcnt(0)
	buffer_wbinvl1_vol
	v_and_b32_e32 v8, 1, v8
	s_branch .LBB2_218
.LBB2_223:                              ;   in Loop: Header=BB2_145 Depth=1
	global_load_dwordx2 v[6:7], v[6:7], off
	s_and_saveexec_b64 s[18:19], s[4:5]
	s_cbranch_execz .LBB2_144
; %bb.224:                              ;   in Loop: Header=BB2_145 Depth=1
	global_load_dwordx2 v[8:9], v30, s[6:7] offset:40
	global_load_dwordx2 v[18:19], v30, s[6:7] offset:24 glc
	global_load_dwordx2 v[10:11], v30, s[6:7]
	s_waitcnt vmcnt(2)
	v_readfirstlane_b32 s20, v8
	v_readfirstlane_b32 s21, v9
	s_add_u32 s22, s20, 1
	s_addc_u32 s23, s21, 0
	s_add_u32 s4, s22, s16
	s_addc_u32 s5, s23, s17
	s_cmp_eq_u64 s[4:5], 0
	s_cselect_b32 s5, s23, s5
	s_cselect_b32 s4, s22, s4
	s_and_b64 s[16:17], s[4:5], s[20:21]
	s_mul_i32 s17, s17, 24
	s_mul_hi_u32 s20, s16, 24
	s_mul_i32 s16, s16, 24
	s_add_i32 s17, s20, s17
	v_mov_b32_e32 v8, s17
	s_waitcnt vmcnt(0)
	v_add_co_u32_e32 v14, vcc, s16, v10
	v_addc_co_u32_e32 v15, vcc, v11, v8, vcc
	v_mov_b32_e32 v16, s4
	global_store_dwordx2 v[14:15], v[18:19], off
	v_mov_b32_e32 v17, s5
	s_waitcnt vmcnt(0)
	global_atomic_cmpswap_x2 v[10:11], v30, v[16:19], s[6:7] offset:24 glc
	s_waitcnt vmcnt(0)
	v_cmp_ne_u64_e32 vcc, v[10:11], v[18:19]
	s_and_b64 exec, exec, vcc
	s_cbranch_execz .LBB2_144
; %bb.225:                              ;   in Loop: Header=BB2_145 Depth=1
	s_mov_b64 s[16:17], 0
.LBB2_226:                              ;   Parent Loop BB2_145 Depth=1
                                        ; =>  This Inner Loop Header: Depth=2
	s_sleep 1
	global_store_dwordx2 v[14:15], v[10:11], off
	v_mov_b32_e32 v8, s4
	v_mov_b32_e32 v9, s5
	s_waitcnt vmcnt(0)
	global_atomic_cmpswap_x2 v[8:9], v30, v[8:11], s[6:7] offset:24 glc
	s_waitcnt vmcnt(0)
	v_cmp_eq_u64_e32 vcc, v[8:9], v[10:11]
	v_mov_b32_e32 v11, v9
	s_or_b64 s[16:17], vcc, s[16:17]
	v_mov_b32_e32 v10, v8
	s_andn2_b64 exec, exec, s[16:17]
	s_cbranch_execnz .LBB2_226
	s_branch .LBB2_144
.LBB2_227:
                                        ; implicit-def: $vgpr6_vgpr7
	s_cbranch_execnz .LBB2_229
	s_branch .LBB2_255
.LBB2_228:
	s_branch .LBB2_255
.LBB2_229:
	v_readfirstlane_b32 s4, v33
	v_mov_b32_e32 v12, 0
	v_mov_b32_e32 v13, 0
	v_cmp_eq_u32_e64 s[4:5], s4, v33
	s_and_saveexec_b64 s[10:11], s[4:5]
	s_cbranch_execz .LBB2_235
; %bb.230:
	s_waitcnt vmcnt(0)
	v_mov_b32_e32 v6, 0
	global_load_dwordx2 v[9:10], v6, s[6:7] offset:24 glc
	s_waitcnt vmcnt(0)
	buffer_wbinvl1_vol
	global_load_dwordx2 v[7:8], v6, s[6:7] offset:40
	global_load_dwordx2 v[11:12], v6, s[6:7]
	s_waitcnt vmcnt(1)
	v_and_b32_e32 v7, v7, v9
	v_and_b32_e32 v8, v8, v10
	v_mul_lo_u32 v8, v8, 24
	v_mul_hi_u32 v13, v7, 24
	v_mul_lo_u32 v7, v7, 24
	v_add_u32_e32 v8, v13, v8
	s_waitcnt vmcnt(0)
	v_add_co_u32_e32 v7, vcc, v11, v7
	v_addc_co_u32_e32 v8, vcc, v12, v8, vcc
	global_load_dwordx2 v[7:8], v[7:8], off glc
	s_waitcnt vmcnt(0)
	global_atomic_cmpswap_x2 v[12:13], v6, v[7:10], s[6:7] offset:24 glc
	s_waitcnt vmcnt(0)
	buffer_wbinvl1_vol
	v_cmp_ne_u64_e32 vcc, v[12:13], v[9:10]
	s_and_saveexec_b64 s[12:13], vcc
	s_cbranch_execz .LBB2_234
; %bb.231:
	s_mov_b64 s[14:15], 0
.LBB2_232:                              ; =>This Inner Loop Header: Depth=1
	s_sleep 1
	global_load_dwordx2 v[7:8], v6, s[6:7] offset:40
	global_load_dwordx2 v[14:15], v6, s[6:7]
	v_mov_b32_e32 v9, v12
	v_mov_b32_e32 v10, v13
	s_waitcnt vmcnt(1)
	v_and_b32_e32 v7, v7, v9
	s_waitcnt vmcnt(0)
	v_mad_u64_u32 v[11:12], s[16:17], v7, 24, v[14:15]
	v_and_b32_e32 v8, v8, v10
	v_mov_b32_e32 v7, v12
	v_mad_u64_u32 v[7:8], s[16:17], v8, 24, v[7:8]
	v_mov_b32_e32 v12, v7
	global_load_dwordx2 v[7:8], v[11:12], off glc
	s_waitcnt vmcnt(0)
	global_atomic_cmpswap_x2 v[12:13], v6, v[7:10], s[6:7] offset:24 glc
	s_waitcnt vmcnt(0)
	buffer_wbinvl1_vol
	v_cmp_eq_u64_e32 vcc, v[12:13], v[9:10]
	s_or_b64 s[14:15], vcc, s[14:15]
	s_andn2_b64 exec, exec, s[14:15]
	s_cbranch_execnz .LBB2_232
; %bb.233:
	s_or_b64 exec, exec, s[14:15]
.LBB2_234:
	s_or_b64 exec, exec, s[12:13]
.LBB2_235:
	s_or_b64 exec, exec, s[10:11]
	s_waitcnt vmcnt(0)
	v_mov_b32_e32 v6, 0
	global_load_dwordx2 v[14:15], v6, s[6:7] offset:40
	global_load_dwordx4 v[8:11], v6, s[6:7]
	v_readfirstlane_b32 s11, v13
	v_readfirstlane_b32 s10, v12
	s_mov_b64 s[12:13], exec
	s_waitcnt vmcnt(1)
	v_readfirstlane_b32 s14, v14
	v_readfirstlane_b32 s15, v15
	s_and_b64 s[14:15], s[14:15], s[10:11]
	s_mul_i32 s16, s15, 24
	s_mul_hi_u32 s17, s14, 24
	s_mul_i32 s18, s14, 24
	s_add_i32 s16, s17, s16
	v_mov_b32_e32 v7, s16
	s_waitcnt vmcnt(0)
	v_add_co_u32_e32 v12, vcc, s18, v8
	v_addc_co_u32_e32 v13, vcc, v9, v7, vcc
	s_and_saveexec_b64 s[16:17], s[4:5]
	s_cbranch_execz .LBB2_237
; %bb.236:
	v_mov_b32_e32 v15, s13
	v_mov_b32_e32 v14, s12
	;; [unrolled: 1-line block ×4, first 2 shown]
	global_store_dwordx4 v[12:13], v[14:17], off offset:8
.LBB2_237:
	s_or_b64 exec, exec, s[16:17]
	s_lshl_b64 s[12:13], s[14:15], 12
	v_mov_b32_e32 v7, s13
	v_add_co_u32_e32 v14, vcc, s12, v10
	v_addc_co_u32_e32 v15, vcc, v11, v7, vcc
	s_movk_i32 s12, 0xff1f
	v_and_or_b32 v4, v4, s12, 32
	s_mov_b32 s12, 0
	v_mov_b32_e32 v7, v6
	v_readfirstlane_b32 s16, v14
	v_readfirstlane_b32 s17, v15
	v_add_co_u32_e32 v10, vcc, v14, v1
	s_mov_b32 s13, s12
	s_mov_b32 s14, s12
	s_mov_b32 s15, s12
	s_nop 0
	global_store_dwordx4 v1, v[4:7], s[16:17]
	v_addc_co_u32_e32 v11, vcc, 0, v15, vcc
	v_mov_b32_e32 v4, s12
	v_mov_b32_e32 v5, s13
	v_mov_b32_e32 v6, s14
	v_mov_b32_e32 v7, s15
	global_store_dwordx4 v1, v[4:7], s[16:17] offset:16
	global_store_dwordx4 v1, v[4:7], s[16:17] offset:32
	;; [unrolled: 1-line block ×3, first 2 shown]
	s_and_saveexec_b64 s[12:13], s[4:5]
	s_cbranch_execz .LBB2_245
; %bb.238:
	v_mov_b32_e32 v14, 0
	global_load_dwordx2 v[17:18], v14, s[6:7] offset:32 glc
	global_load_dwordx2 v[4:5], v14, s[6:7] offset:40
	v_mov_b32_e32 v15, s10
	v_mov_b32_e32 v16, s11
	s_waitcnt vmcnt(0)
	v_readfirstlane_b32 s14, v4
	v_readfirstlane_b32 s15, v5
	s_and_b64 s[14:15], s[14:15], s[10:11]
	s_mul_i32 s15, s15, 24
	s_mul_hi_u32 s16, s14, 24
	s_mul_i32 s14, s14, 24
	s_add_i32 s15, s16, s15
	v_mov_b32_e32 v4, s15
	v_add_co_u32_e32 v8, vcc, s14, v8
	v_addc_co_u32_e32 v9, vcc, v9, v4, vcc
	global_store_dwordx2 v[8:9], v[17:18], off
	s_waitcnt vmcnt(0)
	global_atomic_cmpswap_x2 v[6:7], v14, v[15:18], s[6:7] offset:32 glc
	s_waitcnt vmcnt(0)
	v_cmp_ne_u64_e32 vcc, v[6:7], v[17:18]
	s_and_saveexec_b64 s[14:15], vcc
	s_cbranch_execz .LBB2_241
; %bb.239:
	s_mov_b64 s[16:17], 0
.LBB2_240:                              ; =>This Inner Loop Header: Depth=1
	s_sleep 1
	global_store_dwordx2 v[8:9], v[6:7], off
	v_mov_b32_e32 v4, s10
	v_mov_b32_e32 v5, s11
	s_waitcnt vmcnt(0)
	global_atomic_cmpswap_x2 v[4:5], v14, v[4:7], s[6:7] offset:32 glc
	s_waitcnt vmcnt(0)
	v_cmp_eq_u64_e32 vcc, v[4:5], v[6:7]
	v_mov_b32_e32 v7, v5
	s_or_b64 s[16:17], vcc, s[16:17]
	v_mov_b32_e32 v6, v4
	s_andn2_b64 exec, exec, s[16:17]
	s_cbranch_execnz .LBB2_240
.LBB2_241:
	s_or_b64 exec, exec, s[14:15]
	v_mov_b32_e32 v7, 0
	global_load_dwordx2 v[4:5], v7, s[6:7] offset:16
	s_mov_b64 s[14:15], exec
	v_mbcnt_lo_u32_b32 v6, s14, 0
	v_mbcnt_hi_u32_b32 v6, s15, v6
	v_cmp_eq_u32_e32 vcc, 0, v6
	s_and_saveexec_b64 s[16:17], vcc
	s_cbranch_execz .LBB2_243
; %bb.242:
	s_bcnt1_i32_b64 s14, s[14:15]
	v_mov_b32_e32 v6, s14
	s_waitcnt vmcnt(0)
	global_atomic_add_x2 v[4:5], v[6:7], off offset:8
.LBB2_243:
	s_or_b64 exec, exec, s[16:17]
	s_waitcnt vmcnt(0)
	global_load_dwordx2 v[6:7], v[4:5], off offset:16
	s_waitcnt vmcnt(0)
	v_cmp_eq_u64_e32 vcc, 0, v[6:7]
	s_cbranch_vccnz .LBB2_245
; %bb.244:
	global_load_dword v4, v[4:5], off offset:24
	v_mov_b32_e32 v5, 0
	s_waitcnt vmcnt(0)
	v_readfirstlane_b32 s14, v4
	s_and_b32 m0, s14, 0xffffff
	global_store_dwordx2 v[6:7], v[4:5], off
	s_sendmsg sendmsg(MSG_INTERRUPT)
.LBB2_245:
	s_or_b64 exec, exec, s[12:13]
	s_branch .LBB2_249
.LBB2_246:                              ;   in Loop: Header=BB2_249 Depth=1
	s_or_b64 exec, exec, s[12:13]
	v_readfirstlane_b32 s12, v4
	s_cmp_eq_u32 s12, 0
	s_cbranch_scc1 .LBB2_248
; %bb.247:                              ;   in Loop: Header=BB2_249 Depth=1
	s_sleep 1
	s_cbranch_execnz .LBB2_249
	s_branch .LBB2_251
.LBB2_248:
	s_branch .LBB2_251
.LBB2_249:                              ; =>This Inner Loop Header: Depth=1
	v_mov_b32_e32 v4, 1
	s_and_saveexec_b64 s[12:13], s[4:5]
	s_cbranch_execz .LBB2_246
; %bb.250:                              ;   in Loop: Header=BB2_249 Depth=1
	global_load_dword v4, v[12:13], off offset:20 glc
	s_waitcnt vmcnt(0)
	buffer_wbinvl1_vol
	v_and_b32_e32 v4, 1, v4
	s_branch .LBB2_246
.LBB2_251:
	global_load_dwordx2 v[6:7], v[10:11], off
	s_and_saveexec_b64 s[12:13], s[4:5]
	s_cbranch_execz .LBB2_254
; %bb.252:
	v_mov_b32_e32 v12, 0
	global_load_dwordx2 v[4:5], v12, s[6:7] offset:40
	global_load_dwordx2 v[15:16], v12, s[6:7] offset:24 glc
	global_load_dwordx2 v[8:9], v12, s[6:7]
	s_waitcnt vmcnt(2)
	v_readfirstlane_b32 s14, v4
	v_readfirstlane_b32 s15, v5
	s_add_u32 s16, s14, 1
	s_addc_u32 s17, s15, 0
	s_add_u32 s4, s16, s10
	s_addc_u32 s5, s17, s11
	s_cmp_eq_u64 s[4:5], 0
	s_cselect_b32 s5, s17, s5
	s_cselect_b32 s4, s16, s4
	s_and_b64 s[10:11], s[4:5], s[14:15]
	s_mul_i32 s11, s11, 24
	s_mul_hi_u32 s14, s10, 24
	s_mul_i32 s10, s10, 24
	s_add_i32 s11, s14, s11
	v_mov_b32_e32 v5, s11
	s_waitcnt vmcnt(0)
	v_add_co_u32_e32 v4, vcc, s10, v8
	v_addc_co_u32_e32 v5, vcc, v9, v5, vcc
	v_mov_b32_e32 v13, s4
	global_store_dwordx2 v[4:5], v[15:16], off
	v_mov_b32_e32 v14, s5
	s_waitcnt vmcnt(0)
	global_atomic_cmpswap_x2 v[10:11], v12, v[13:16], s[6:7] offset:24 glc
	s_mov_b64 s[10:11], 0
	s_waitcnt vmcnt(0)
	v_cmp_ne_u64_e32 vcc, v[10:11], v[15:16]
	s_and_b64 exec, exec, vcc
	s_cbranch_execz .LBB2_254
.LBB2_253:                              ; =>This Inner Loop Header: Depth=1
	s_sleep 1
	global_store_dwordx2 v[4:5], v[10:11], off
	v_mov_b32_e32 v8, s4
	v_mov_b32_e32 v9, s5
	s_waitcnt vmcnt(0)
	global_atomic_cmpswap_x2 v[8:9], v12, v[8:11], s[6:7] offset:24 glc
	s_waitcnt vmcnt(0)
	v_cmp_eq_u64_e32 vcc, v[8:9], v[10:11]
	v_mov_b32_e32 v11, v9
	s_or_b64 s[10:11], vcc, s[10:11]
	v_mov_b32_e32 v10, v8
	s_andn2_b64 exec, exec, s[10:11]
	s_cbranch_execnz .LBB2_253
.LBB2_254:
	s_or_b64 exec, exec, s[12:13]
.LBB2_255:
	v_readfirstlane_b32 s4, v33
	s_waitcnt vmcnt(0)
	v_mov_b32_e32 v4, 0
	v_mov_b32_e32 v5, 0
	v_cmp_eq_u32_e64 s[4:5], s4, v33
	s_and_saveexec_b64 s[10:11], s[4:5]
	s_cbranch_execz .LBB2_261
; %bb.256:
	v_mov_b32_e32 v8, 0
	global_load_dwordx2 v[11:12], v8, s[6:7] offset:24 glc
	s_waitcnt vmcnt(0)
	buffer_wbinvl1_vol
	global_load_dwordx2 v[4:5], v8, s[6:7] offset:40
	global_load_dwordx2 v[9:10], v8, s[6:7]
	s_waitcnt vmcnt(1)
	v_and_b32_e32 v4, v4, v11
	v_and_b32_e32 v5, v5, v12
	v_mul_lo_u32 v5, v5, 24
	v_mul_hi_u32 v13, v4, 24
	v_mul_lo_u32 v4, v4, 24
	v_add_u32_e32 v5, v13, v5
	s_waitcnt vmcnt(0)
	v_add_co_u32_e32 v4, vcc, v9, v4
	v_addc_co_u32_e32 v5, vcc, v10, v5, vcc
	global_load_dwordx2 v[9:10], v[4:5], off glc
	s_waitcnt vmcnt(0)
	global_atomic_cmpswap_x2 v[4:5], v8, v[9:12], s[6:7] offset:24 glc
	s_waitcnt vmcnt(0)
	buffer_wbinvl1_vol
	v_cmp_ne_u64_e32 vcc, v[4:5], v[11:12]
	s_and_saveexec_b64 s[12:13], vcc
	s_cbranch_execz .LBB2_260
; %bb.257:
	s_mov_b64 s[14:15], 0
.LBB2_258:                              ; =>This Inner Loop Header: Depth=1
	s_sleep 1
	global_load_dwordx2 v[9:10], v8, s[6:7] offset:40
	global_load_dwordx2 v[13:14], v8, s[6:7]
	v_mov_b32_e32 v12, v5
	v_mov_b32_e32 v11, v4
	s_waitcnt vmcnt(1)
	v_and_b32_e32 v4, v9, v11
	s_waitcnt vmcnt(0)
	v_mad_u64_u32 v[4:5], s[16:17], v4, 24, v[13:14]
	v_and_b32_e32 v9, v10, v12
	v_mad_u64_u32 v[9:10], s[16:17], v9, 24, v[5:6]
	v_mov_b32_e32 v5, v9
	global_load_dwordx2 v[9:10], v[4:5], off glc
	s_waitcnt vmcnt(0)
	global_atomic_cmpswap_x2 v[4:5], v8, v[9:12], s[6:7] offset:24 glc
	s_waitcnt vmcnt(0)
	buffer_wbinvl1_vol
	v_cmp_eq_u64_e32 vcc, v[4:5], v[11:12]
	s_or_b64 s[14:15], vcc, s[14:15]
	s_andn2_b64 exec, exec, s[14:15]
	s_cbranch_execnz .LBB2_258
; %bb.259:
	s_or_b64 exec, exec, s[14:15]
.LBB2_260:
	s_or_b64 exec, exec, s[12:13]
.LBB2_261:
	s_or_b64 exec, exec, s[10:11]
	v_mov_b32_e32 v9, 0
	global_load_dwordx2 v[14:15], v9, s[6:7] offset:40
	global_load_dwordx4 v[10:13], v9, s[6:7]
	v_readfirstlane_b32 s11, v5
	v_readfirstlane_b32 s10, v4
	s_mov_b64 s[12:13], exec
	s_waitcnt vmcnt(1)
	v_readfirstlane_b32 s14, v14
	v_readfirstlane_b32 s15, v15
	s_and_b64 s[14:15], s[14:15], s[10:11]
	s_mul_i32 s16, s15, 24
	s_mul_hi_u32 s17, s14, 24
	s_mul_i32 s18, s14, 24
	s_add_i32 s16, s17, s16
	v_mov_b32_e32 v4, s16
	s_waitcnt vmcnt(0)
	v_add_co_u32_e32 v14, vcc, s18, v10
	v_addc_co_u32_e32 v15, vcc, v11, v4, vcc
	s_and_saveexec_b64 s[16:17], s[4:5]
	s_cbranch_execz .LBB2_263
; %bb.262:
	v_mov_b32_e32 v17, s13
	v_mov_b32_e32 v16, s12
	;; [unrolled: 1-line block ×4, first 2 shown]
	global_store_dwordx4 v[14:15], v[16:19], off offset:8
.LBB2_263:
	s_or_b64 exec, exec, s[16:17]
	s_lshl_b64 s[12:13], s[14:15], 12
	v_mov_b32_e32 v4, s13
	v_add_co_u32_e32 v5, vcc, s12, v12
	v_addc_co_u32_e32 v4, vcc, v13, v4, vcc
	s_movk_i32 s12, 0xff1f
	v_and_or_b32 v6, v6, s12, 32
	v_add_co_u32_e32 v12, vcc, v5, v1
	v_mov_b32_e32 v8, v0
	v_readfirstlane_b32 s16, v5
	v_readfirstlane_b32 s17, v4
	s_mov_b32 s12, 0
	v_addc_co_u32_e32 v13, vcc, 0, v4, vcc
	s_mov_b32 s13, s12
	s_mov_b32 s14, s12
	s_nop 0
	global_store_dwordx4 v1, v[6:9], s[16:17]
	s_mov_b32 s15, s12
	v_mov_b32_e32 v4, s12
	v_mov_b32_e32 v5, s13
	;; [unrolled: 1-line block ×4, first 2 shown]
	global_store_dwordx4 v1, v[4:7], s[16:17] offset:16
	global_store_dwordx4 v1, v[4:7], s[16:17] offset:32
	;; [unrolled: 1-line block ×3, first 2 shown]
	s_and_saveexec_b64 s[12:13], s[4:5]
	s_cbranch_execz .LBB2_271
; %bb.264:
	v_mov_b32_e32 v8, 0
	global_load_dwordx2 v[18:19], v8, s[6:7] offset:32 glc
	global_load_dwordx2 v[0:1], v8, s[6:7] offset:40
	v_mov_b32_e32 v16, s10
	v_mov_b32_e32 v17, s11
	s_waitcnt vmcnt(0)
	v_readfirstlane_b32 s14, v0
	v_readfirstlane_b32 s15, v1
	s_and_b64 s[14:15], s[14:15], s[10:11]
	s_mul_i32 s15, s15, 24
	s_mul_hi_u32 s16, s14, 24
	s_mul_i32 s14, s14, 24
	s_add_i32 s15, s16, s15
	v_mov_b32_e32 v1, s15
	v_add_co_u32_e32 v0, vcc, s14, v10
	v_addc_co_u32_e32 v1, vcc, v11, v1, vcc
	global_store_dwordx2 v[0:1], v[18:19], off
	s_waitcnt vmcnt(0)
	global_atomic_cmpswap_x2 v[6:7], v8, v[16:19], s[6:7] offset:32 glc
	s_waitcnt vmcnt(0)
	v_cmp_ne_u64_e32 vcc, v[6:7], v[18:19]
	s_and_saveexec_b64 s[14:15], vcc
	s_cbranch_execz .LBB2_267
; %bb.265:
	s_mov_b64 s[16:17], 0
.LBB2_266:                              ; =>This Inner Loop Header: Depth=1
	s_sleep 1
	global_store_dwordx2 v[0:1], v[6:7], off
	v_mov_b32_e32 v4, s10
	v_mov_b32_e32 v5, s11
	s_waitcnt vmcnt(0)
	global_atomic_cmpswap_x2 v[4:5], v8, v[4:7], s[6:7] offset:32 glc
	s_waitcnt vmcnt(0)
	v_cmp_eq_u64_e32 vcc, v[4:5], v[6:7]
	v_mov_b32_e32 v7, v5
	s_or_b64 s[16:17], vcc, s[16:17]
	v_mov_b32_e32 v6, v4
	s_andn2_b64 exec, exec, s[16:17]
	s_cbranch_execnz .LBB2_266
.LBB2_267:
	s_or_b64 exec, exec, s[14:15]
	v_mov_b32_e32 v5, 0
	global_load_dwordx2 v[0:1], v5, s[6:7] offset:16
	s_mov_b64 s[14:15], exec
	v_mbcnt_lo_u32_b32 v4, s14, 0
	v_mbcnt_hi_u32_b32 v4, s15, v4
	v_cmp_eq_u32_e32 vcc, 0, v4
	s_and_saveexec_b64 s[16:17], vcc
	s_cbranch_execz .LBB2_269
; %bb.268:
	s_bcnt1_i32_b64 s14, s[14:15]
	v_mov_b32_e32 v4, s14
	s_waitcnt vmcnt(0)
	global_atomic_add_x2 v[0:1], v[4:5], off offset:8
.LBB2_269:
	s_or_b64 exec, exec, s[16:17]
	s_waitcnt vmcnt(0)
	global_load_dwordx2 v[4:5], v[0:1], off offset:16
	s_waitcnt vmcnt(0)
	v_cmp_eq_u64_e32 vcc, 0, v[4:5]
	s_cbranch_vccnz .LBB2_271
; %bb.270:
	global_load_dword v0, v[0:1], off offset:24
	v_mov_b32_e32 v1, 0
	s_waitcnt vmcnt(0)
	v_readfirstlane_b32 s14, v0
	s_and_b32 m0, s14, 0xffffff
	global_store_dwordx2 v[4:5], v[0:1], off
	s_sendmsg sendmsg(MSG_INTERRUPT)
.LBB2_271:
	s_or_b64 exec, exec, s[12:13]
	s_branch .LBB2_275
.LBB2_272:                              ;   in Loop: Header=BB2_275 Depth=1
	s_or_b64 exec, exec, s[12:13]
	v_readfirstlane_b32 s12, v0
	s_cmp_eq_u32 s12, 0
	s_cbranch_scc1 .LBB2_274
; %bb.273:                              ;   in Loop: Header=BB2_275 Depth=1
	s_sleep 1
	s_cbranch_execnz .LBB2_275
	s_branch .LBB2_277
.LBB2_274:
	s_branch .LBB2_277
.LBB2_275:                              ; =>This Inner Loop Header: Depth=1
	v_mov_b32_e32 v0, 1
	s_and_saveexec_b64 s[12:13], s[4:5]
	s_cbranch_execz .LBB2_272
; %bb.276:                              ;   in Loop: Header=BB2_275 Depth=1
	global_load_dword v0, v[14:15], off offset:20 glc
	s_waitcnt vmcnt(0)
	buffer_wbinvl1_vol
	v_and_b32_e32 v0, 1, v0
	s_branch .LBB2_272
.LBB2_277:
	global_load_dwordx2 v[0:1], v[12:13], off
	s_and_saveexec_b64 s[12:13], s[4:5]
	s_cbranch_execz .LBB2_280
; %bb.278:
	v_mov_b32_e32 v10, 0
	global_load_dwordx2 v[4:5], v10, s[6:7] offset:40
	global_load_dwordx2 v[13:14], v10, s[6:7] offset:24 glc
	global_load_dwordx2 v[6:7], v10, s[6:7]
	s_waitcnt vmcnt(2)
	v_readfirstlane_b32 s14, v4
	v_readfirstlane_b32 s15, v5
	s_add_u32 s16, s14, 1
	s_addc_u32 s17, s15, 0
	s_add_u32 s4, s16, s10
	s_addc_u32 s5, s17, s11
	s_cmp_eq_u64 s[4:5], 0
	s_cselect_b32 s5, s17, s5
	s_cselect_b32 s4, s16, s4
	s_and_b64 s[10:11], s[4:5], s[14:15]
	s_mul_i32 s11, s11, 24
	s_mul_hi_u32 s14, s10, 24
	s_mul_i32 s10, s10, 24
	s_add_i32 s11, s14, s11
	v_mov_b32_e32 v4, s11
	s_waitcnt vmcnt(0)
	v_add_co_u32_e32 v8, vcc, s10, v6
	v_addc_co_u32_e32 v9, vcc, v7, v4, vcc
	v_mov_b32_e32 v11, s4
	global_store_dwordx2 v[8:9], v[13:14], off
	v_mov_b32_e32 v12, s5
	s_waitcnt vmcnt(0)
	global_atomic_cmpswap_x2 v[6:7], v10, v[11:14], s[6:7] offset:24 glc
	s_mov_b64 s[10:11], 0
	s_waitcnt vmcnt(0)
	v_cmp_ne_u64_e32 vcc, v[6:7], v[13:14]
	s_and_b64 exec, exec, vcc
	s_cbranch_execz .LBB2_280
.LBB2_279:                              ; =>This Inner Loop Header: Depth=1
	s_sleep 1
	global_store_dwordx2 v[8:9], v[6:7], off
	v_mov_b32_e32 v4, s4
	v_mov_b32_e32 v5, s5
	s_waitcnt vmcnt(0)
	global_atomic_cmpswap_x2 v[4:5], v10, v[4:7], s[6:7] offset:24 glc
	s_waitcnt vmcnt(0)
	v_cmp_eq_u64_e32 vcc, v[4:5], v[6:7]
	v_mov_b32_e32 v7, v5
	s_or_b64 s[10:11], vcc, s[10:11]
	v_mov_b32_e32 v6, v4
	s_andn2_b64 exec, exec, s[10:11]
	s_cbranch_execnz .LBB2_279
.LBB2_280:
	s_or_b64 exec, exec, s[12:13]
	v_mov_b32_e32 v4, 0
	v_cmp_ne_u64_e32 vcc, 0, v[2:3]
	v_mov_b32_e32 v5, 0
	s_and_saveexec_b64 s[4:5], vcc
	s_cbranch_execz .LBB2_284
; %bb.281:
	v_mov_b32_e32 v5, v3
	s_mov_b64 s[6:7], 0
	v_mov_b32_e32 v4, v2
.LBB2_282:                              ; =>This Inner Loop Header: Depth=1
	global_load_ubyte v8, v[4:5], off
	v_add_co_u32_e32 v6, vcc, 1, v4
	v_addc_co_u32_e32 v7, vcc, 0, v5, vcc
	v_mov_b32_e32 v4, v6
	v_mov_b32_e32 v5, v7
	s_waitcnt vmcnt(0)
	v_cmp_eq_u16_e32 vcc, 0, v8
	s_or_b64 s[6:7], vcc, s[6:7]
	s_andn2_b64 exec, exec, s[6:7]
	s_cbranch_execnz .LBB2_282
; %bb.283:
	s_or_b64 exec, exec, s[6:7]
	v_add_co_u32_e32 v4, vcc, -1, v6
	v_addc_co_u32_e32 v5, vcc, -1, v7, vcc
	v_sub_co_u32_e32 v4, vcc, v4, v2
	v_subb_co_u32_e32 v5, vcc, v5, v3, vcc
	v_add_co_u32_e32 v4, vcc, 1, v4
	v_addc_co_u32_e32 v5, vcc, 0, v5, vcc
.LBB2_284:
	s_or_b64 exec, exec, s[4:5]
	s_getpc_b64 s[4:5]
	s_add_u32 s4, s4, __ockl_printf_append_string_n@rel32@lo+4
	s_addc_u32 s5, s5, __ockl_printf_append_string_n@rel32@hi+12
	s_mov_b64 s[8:9], s[26:27]
	s_swappc_b64 s[30:31], s[4:5]
	s_getpc_b64 s[4:5]
	s_add_u32 s4, s4, __ockl_printf_append_args@rel32@lo+4
	s_addc_u32 s5, s5, __ockl_printf_append_args@rel32@hi+12
	s_mov_b64 s[8:9], s[26:27]
	v_mov_b32_e32 v2, 0x514
	v_mov_b32_e32 v3, 0
	v_mov_b32_e32 v4, 1
	s_swappc_b64 s[30:31], s[4:5]
	s_trap 2
.Lfunc_end2:
	.size	_ZL14no_device_codePKciS0_iS0_, .Lfunc_end2-_ZL14no_device_codePKciS0_iS0_
                                        ; -- End function
	.set .L_ZL14no_device_codePKciS0_iS0_.num_vgpr, max(38, .L__ockl_printf_append_string_n.num_vgpr, .L__ockl_printf_append_args.num_vgpr)
	.set .L_ZL14no_device_codePKciS0_iS0_.num_agpr, max(0, .L__ockl_printf_append_string_n.num_agpr, .L__ockl_printf_append_args.num_agpr)
	.set .L_ZL14no_device_codePKciS0_iS0_.numbered_sgpr, max(34, .L__ockl_printf_append_string_n.numbered_sgpr, .L__ockl_printf_append_args.numbered_sgpr)
	.set .L_ZL14no_device_codePKciS0_iS0_.num_named_barrier, max(0, .L__ockl_printf_append_string_n.num_named_barrier, .L__ockl_printf_append_args.num_named_barrier)
	.set .L_ZL14no_device_codePKciS0_iS0_.private_seg_size, 16+max(.L__ockl_printf_append_string_n.private_seg_size, .L__ockl_printf_append_args.private_seg_size)
	.set .L_ZL14no_device_codePKciS0_iS0_.uses_vcc, or(1, .L__ockl_printf_append_string_n.uses_vcc, .L__ockl_printf_append_args.uses_vcc)
	.set .L_ZL14no_device_codePKciS0_iS0_.uses_flat_scratch, or(0, .L__ockl_printf_append_string_n.uses_flat_scratch, .L__ockl_printf_append_args.uses_flat_scratch)
	.set .L_ZL14no_device_codePKciS0_iS0_.has_dyn_sized_stack, or(0, .L__ockl_printf_append_string_n.has_dyn_sized_stack, .L__ockl_printf_append_args.has_dyn_sized_stack)
	.set .L_ZL14no_device_codePKciS0_iS0_.has_recursion, or(0, .L__ockl_printf_append_string_n.has_recursion, .L__ockl_printf_append_args.has_recursion)
	.set .L_ZL14no_device_codePKciS0_iS0_.has_indirect_call, or(0, .L__ockl_printf_append_string_n.has_indirect_call, .L__ockl_printf_append_args.has_indirect_call)
	.section	.AMDGPU.csdata,"",@progbits
; Function info:
; codeLenInByte = 9608
; TotalNumSgprs: 38
; NumVgprs: 38
; ScratchSize: 16
; MemoryBound: 0
	.section	.text._ZL13mul_mat_f_idsIfLi32ELi3ELi1EEvPKT_PKfPKiS6_S6_Pfiiiiiiiiiiiiii15HIP_vector_typeIjLj3EES9_,"axG",@progbits,_ZL13mul_mat_f_idsIfLi32ELi3ELi1EEvPKT_PKfPKiS6_S6_Pfiiiiiiiiiiiiii15HIP_vector_typeIjLj3EES9_,comdat
	.globl	_ZL13mul_mat_f_idsIfLi32ELi3ELi1EEvPKT_PKfPKiS6_S6_Pfiiiiiiiiiiiiii15HIP_vector_typeIjLj3EES9_ ; -- Begin function _ZL13mul_mat_f_idsIfLi32ELi3ELi1EEvPKT_PKfPKiS6_S6_Pfiiiiiiiiiiiiii15HIP_vector_typeIjLj3EES9_
	.p2align	8
	.type	_ZL13mul_mat_f_idsIfLi32ELi3ELi1EEvPKT_PKfPKiS6_S6_Pfiiiiiiiiiiiiii15HIP_vector_typeIjLj3EES9_,@function
_ZL13mul_mat_f_idsIfLi32ELi3ELi1EEvPKT_PKfPKiS6_S6_Pfiiiiiiiiiiiiii15HIP_vector_typeIjLj3EES9_: ; @_ZL13mul_mat_f_idsIfLi32ELi3ELi1EEvPKT_PKfPKiS6_S6_Pfiiiiiiiiiiiiii15HIP_vector_typeIjLj3EES9_
; %bb.0:
	s_add_u32 s0, s0, s7
	s_addc_u32 s1, s1, 0
	s_add_u32 s8, s4, 0x80
	s_addc_u32 s9, s5, 0
	s_getpc_b64 s[4:5]
	s_add_u32 s4, s4, __FUNCTION__._ZL13mul_mat_f_idsIfLi32ELi3ELi1EEvPKT_PKfPKiS6_S6_Pfiiiiiiiiiiiiii15HIP_vector_typeIjLj3EES9_@rel32@lo+4
	s_addc_u32 s5, s5, __FUNCTION__._ZL13mul_mat_f_idsIfLi32ELi3ELi1EEvPKT_PKfPKiS6_S6_Pfiiiiiiiiiiiiii15HIP_vector_typeIjLj3EES9_@rel32@hi+12
	s_getpc_b64 s[6:7]
	s_add_u32 s6, s6, _ZL14no_device_codePKciS0_iS0_@rel32@lo+4
	s_addc_u32 s7, s7, _ZL14no_device_codePKciS0_iS0_@rel32@hi+12
	v_mov_b32_e32 v0, 0x238
	v_mov_b32_e32 v1, s4
	;; [unrolled: 1-line block ×3, first 2 shown]
	s_mov_b32 s32, 0
	s_swappc_b64 s[30:31], s[6:7]
	.section	.rodata,"a",@progbits
	.p2align	6, 0x0
	.amdhsa_kernel _ZL13mul_mat_f_idsIfLi32ELi3ELi1EEvPKT_PKfPKiS6_S6_Pfiiiiiiiiiiiiii15HIP_vector_typeIjLj3EES9_
		.amdhsa_group_segment_fixed_size 0
		.amdhsa_private_segment_fixed_size 16
		.amdhsa_kernarg_size 384
		.amdhsa_user_sgpr_count 6
		.amdhsa_user_sgpr_private_segment_buffer 1
		.amdhsa_user_sgpr_dispatch_ptr 0
		.amdhsa_user_sgpr_queue_ptr 0
		.amdhsa_user_sgpr_kernarg_segment_ptr 1
		.amdhsa_user_sgpr_dispatch_id 0
		.amdhsa_user_sgpr_flat_scratch_init 0
		.amdhsa_user_sgpr_private_segment_size 0
		.amdhsa_uses_dynamic_stack 0
		.amdhsa_system_sgpr_private_segment_wavefront_offset 1
		.amdhsa_system_sgpr_workgroup_id_x 1
		.amdhsa_system_sgpr_workgroup_id_y 0
		.amdhsa_system_sgpr_workgroup_id_z 0
		.amdhsa_system_sgpr_workgroup_info 0
		.amdhsa_system_vgpr_workitem_id 0
		.amdhsa_next_free_vgpr 38
		.amdhsa_next_free_sgpr 34
		.amdhsa_reserve_vcc 1
		.amdhsa_reserve_flat_scratch 0
		.amdhsa_float_round_mode_32 0
		.amdhsa_float_round_mode_16_64 0
		.amdhsa_float_denorm_mode_32 3
		.amdhsa_float_denorm_mode_16_64 3
		.amdhsa_dx10_clamp 1
		.amdhsa_ieee_mode 1
		.amdhsa_fp16_overflow 0
		.amdhsa_exception_fp_ieee_invalid_op 0
		.amdhsa_exception_fp_denorm_src 0
		.amdhsa_exception_fp_ieee_div_zero 0
		.amdhsa_exception_fp_ieee_overflow 0
		.amdhsa_exception_fp_ieee_underflow 0
		.amdhsa_exception_fp_ieee_inexact 0
		.amdhsa_exception_int_div_zero 0
	.end_amdhsa_kernel
	.section	.text._ZL13mul_mat_f_idsIfLi32ELi3ELi1EEvPKT_PKfPKiS6_S6_Pfiiiiiiiiiiiiii15HIP_vector_typeIjLj3EES9_,"axG",@progbits,_ZL13mul_mat_f_idsIfLi32ELi3ELi1EEvPKT_PKfPKiS6_S6_Pfiiiiiiiiiiiiii15HIP_vector_typeIjLj3EES9_,comdat
.Lfunc_end3:
	.size	_ZL13mul_mat_f_idsIfLi32ELi3ELi1EEvPKT_PKfPKiS6_S6_Pfiiiiiiiiiiiiii15HIP_vector_typeIjLj3EES9_, .Lfunc_end3-_ZL13mul_mat_f_idsIfLi32ELi3ELi1EEvPKT_PKfPKiS6_S6_Pfiiiiiiiiiiiiii15HIP_vector_typeIjLj3EES9_
                                        ; -- End function
	.set _ZL13mul_mat_f_idsIfLi32ELi3ELi1EEvPKT_PKfPKiS6_S6_Pfiiiiiiiiiiiiii15HIP_vector_typeIjLj3EES9_.num_vgpr, max(3, .L_ZL14no_device_codePKciS0_iS0_.num_vgpr)
	.set _ZL13mul_mat_f_idsIfLi32ELi3ELi1EEvPKT_PKfPKiS6_S6_Pfiiiiiiiiiiiiii15HIP_vector_typeIjLj3EES9_.num_agpr, max(0, .L_ZL14no_device_codePKciS0_iS0_.num_agpr)
	.set _ZL13mul_mat_f_idsIfLi32ELi3ELi1EEvPKT_PKfPKiS6_S6_Pfiiiiiiiiiiiiii15HIP_vector_typeIjLj3EES9_.numbered_sgpr, max(33, .L_ZL14no_device_codePKciS0_iS0_.numbered_sgpr)
	.set _ZL13mul_mat_f_idsIfLi32ELi3ELi1EEvPKT_PKfPKiS6_S6_Pfiiiiiiiiiiiiii15HIP_vector_typeIjLj3EES9_.num_named_barrier, max(0, .L_ZL14no_device_codePKciS0_iS0_.num_named_barrier)
	.set _ZL13mul_mat_f_idsIfLi32ELi3ELi1EEvPKT_PKfPKiS6_S6_Pfiiiiiiiiiiiiii15HIP_vector_typeIjLj3EES9_.private_seg_size, 0+max(.L_ZL14no_device_codePKciS0_iS0_.private_seg_size)
	.set _ZL13mul_mat_f_idsIfLi32ELi3ELi1EEvPKT_PKfPKiS6_S6_Pfiiiiiiiiiiiiii15HIP_vector_typeIjLj3EES9_.uses_vcc, or(1, .L_ZL14no_device_codePKciS0_iS0_.uses_vcc)
	.set _ZL13mul_mat_f_idsIfLi32ELi3ELi1EEvPKT_PKfPKiS6_S6_Pfiiiiiiiiiiiiii15HIP_vector_typeIjLj3EES9_.uses_flat_scratch, or(0, .L_ZL14no_device_codePKciS0_iS0_.uses_flat_scratch)
	.set _ZL13mul_mat_f_idsIfLi32ELi3ELi1EEvPKT_PKfPKiS6_S6_Pfiiiiiiiiiiiiii15HIP_vector_typeIjLj3EES9_.has_dyn_sized_stack, or(0, .L_ZL14no_device_codePKciS0_iS0_.has_dyn_sized_stack)
	.set _ZL13mul_mat_f_idsIfLi32ELi3ELi1EEvPKT_PKfPKiS6_S6_Pfiiiiiiiiiiiiii15HIP_vector_typeIjLj3EES9_.has_recursion, or(0, .L_ZL14no_device_codePKciS0_iS0_.has_recursion)
	.set _ZL13mul_mat_f_idsIfLi32ELi3ELi1EEvPKT_PKfPKiS6_S6_Pfiiiiiiiiiiiiii15HIP_vector_typeIjLj3EES9_.has_indirect_call, or(0, .L_ZL14no_device_codePKciS0_iS0_.has_indirect_call)
	.section	.AMDGPU.csdata,"",@progbits
; Kernel info:
; codeLenInByte = 84
; TotalNumSgprs: 38
; NumVgprs: 38
; ScratchSize: 16
; MemoryBound: 0
; FloatMode: 240
; IeeeMode: 1
; LDSByteSize: 0 bytes/workgroup (compile time only)
; SGPRBlocks: 4
; VGPRBlocks: 9
; NumSGPRsForWavesPerEU: 38
; NumVGPRsForWavesPerEU: 38
; Occupancy: 6
; WaveLimiterHint : 1
; COMPUTE_PGM_RSRC2:SCRATCH_EN: 1
; COMPUTE_PGM_RSRC2:USER_SGPR: 6
; COMPUTE_PGM_RSRC2:TRAP_HANDLER: 0
; COMPUTE_PGM_RSRC2:TGID_X_EN: 1
; COMPUTE_PGM_RSRC2:TGID_Y_EN: 0
; COMPUTE_PGM_RSRC2:TGID_Z_EN: 0
; COMPUTE_PGM_RSRC2:TIDIG_COMP_CNT: 0
	.section	.text._ZL9mul_mat_fIfLi32ELi3ELi1ELb1EEvPKT_PKfPKiPfiiiiiiiiiiiiiiii,"axG",@progbits,_ZL9mul_mat_fIfLi32ELi3ELi1ELb1EEvPKT_PKfPKiPfiiiiiiiiiiiiiiii,comdat
	.globl	_ZL9mul_mat_fIfLi32ELi3ELi1ELb1EEvPKT_PKfPKiPfiiiiiiiiiiiiiiii ; -- Begin function _ZL9mul_mat_fIfLi32ELi3ELi1ELb1EEvPKT_PKfPKiPfiiiiiiiiiiiiiiii
	.p2align	8
	.type	_ZL9mul_mat_fIfLi32ELi3ELi1ELb1EEvPKT_PKfPKiPfiiiiiiiiiiiiiiii,@function
_ZL9mul_mat_fIfLi32ELi3ELi1ELb1EEvPKT_PKfPKiPfiiiiiiiiiiiiiiii: ; @_ZL9mul_mat_fIfLi32ELi3ELi1ELb1EEvPKT_PKfPKiPfiiiiiiiiiiiiiiii
; %bb.0:
	s_add_u32 s0, s0, s7
	s_addc_u32 s1, s1, 0
	s_add_u32 s8, s4, 0x60
	s_addc_u32 s9, s5, 0
	s_getpc_b64 s[4:5]
	s_add_u32 s4, s4, __FUNCTION__._ZL9mul_mat_fIfLi32ELi3ELi1ELb1EEvPKT_PKfPKiPfiiiiiiiiiiiiiiii@rel32@lo+4
	s_addc_u32 s5, s5, __FUNCTION__._ZL9mul_mat_fIfLi32ELi3ELi1ELb1EEvPKT_PKfPKiPfiiiiiiiiiiiiiiii@rel32@hi+12
	s_getpc_b64 s[6:7]
	s_add_u32 s6, s6, _ZL14no_device_codePKciS0_iS0_@rel32@lo+4
	s_addc_u32 s7, s7, _ZL14no_device_codePKciS0_iS0_@rel32@hi+12
	v_mov_b32_e32 v0, 0x124
	v_mov_b32_e32 v1, s4
	;; [unrolled: 1-line block ×3, first 2 shown]
	s_mov_b32 s32, 0
	s_swappc_b64 s[30:31], s[6:7]
	.section	.rodata,"a",@progbits
	.p2align	6, 0x0
	.amdhsa_kernel _ZL9mul_mat_fIfLi32ELi3ELi1ELb1EEvPKT_PKfPKiPfiiiiiiiiiiiiiiii
		.amdhsa_group_segment_fixed_size 0
		.amdhsa_private_segment_fixed_size 16
		.amdhsa_kernarg_size 352
		.amdhsa_user_sgpr_count 6
		.amdhsa_user_sgpr_private_segment_buffer 1
		.amdhsa_user_sgpr_dispatch_ptr 0
		.amdhsa_user_sgpr_queue_ptr 0
		.amdhsa_user_sgpr_kernarg_segment_ptr 1
		.amdhsa_user_sgpr_dispatch_id 0
		.amdhsa_user_sgpr_flat_scratch_init 0
		.amdhsa_user_sgpr_private_segment_size 0
		.amdhsa_uses_dynamic_stack 0
		.amdhsa_system_sgpr_private_segment_wavefront_offset 1
		.amdhsa_system_sgpr_workgroup_id_x 1
		.amdhsa_system_sgpr_workgroup_id_y 0
		.amdhsa_system_sgpr_workgroup_id_z 0
		.amdhsa_system_sgpr_workgroup_info 0
		.amdhsa_system_vgpr_workitem_id 0
		.amdhsa_next_free_vgpr 38
		.amdhsa_next_free_sgpr 34
		.amdhsa_reserve_vcc 1
		.amdhsa_reserve_flat_scratch 0
		.amdhsa_float_round_mode_32 0
		.amdhsa_float_round_mode_16_64 0
		.amdhsa_float_denorm_mode_32 3
		.amdhsa_float_denorm_mode_16_64 3
		.amdhsa_dx10_clamp 1
		.amdhsa_ieee_mode 1
		.amdhsa_fp16_overflow 0
		.amdhsa_exception_fp_ieee_invalid_op 0
		.amdhsa_exception_fp_denorm_src 0
		.amdhsa_exception_fp_ieee_div_zero 0
		.amdhsa_exception_fp_ieee_overflow 0
		.amdhsa_exception_fp_ieee_underflow 0
		.amdhsa_exception_fp_ieee_inexact 0
		.amdhsa_exception_int_div_zero 0
	.end_amdhsa_kernel
	.section	.text._ZL9mul_mat_fIfLi32ELi3ELi1ELb1EEvPKT_PKfPKiPfiiiiiiiiiiiiiiii,"axG",@progbits,_ZL9mul_mat_fIfLi32ELi3ELi1ELb1EEvPKT_PKfPKiPfiiiiiiiiiiiiiiii,comdat
.Lfunc_end4:
	.size	_ZL9mul_mat_fIfLi32ELi3ELi1ELb1EEvPKT_PKfPKiPfiiiiiiiiiiiiiiii, .Lfunc_end4-_ZL9mul_mat_fIfLi32ELi3ELi1ELb1EEvPKT_PKfPKiPfiiiiiiiiiiiiiiii
                                        ; -- End function
	.set _ZL9mul_mat_fIfLi32ELi3ELi1ELb1EEvPKT_PKfPKiPfiiiiiiiiiiiiiiii.num_vgpr, max(3, .L_ZL14no_device_codePKciS0_iS0_.num_vgpr)
	.set _ZL9mul_mat_fIfLi32ELi3ELi1ELb1EEvPKT_PKfPKiPfiiiiiiiiiiiiiiii.num_agpr, max(0, .L_ZL14no_device_codePKciS0_iS0_.num_agpr)
	.set _ZL9mul_mat_fIfLi32ELi3ELi1ELb1EEvPKT_PKfPKiPfiiiiiiiiiiiiiiii.numbered_sgpr, max(33, .L_ZL14no_device_codePKciS0_iS0_.numbered_sgpr)
	.set _ZL9mul_mat_fIfLi32ELi3ELi1ELb1EEvPKT_PKfPKiPfiiiiiiiiiiiiiiii.num_named_barrier, max(0, .L_ZL14no_device_codePKciS0_iS0_.num_named_barrier)
	.set _ZL9mul_mat_fIfLi32ELi3ELi1ELb1EEvPKT_PKfPKiPfiiiiiiiiiiiiiiii.private_seg_size, 0+max(.L_ZL14no_device_codePKciS0_iS0_.private_seg_size)
	.set _ZL9mul_mat_fIfLi32ELi3ELi1ELb1EEvPKT_PKfPKiPfiiiiiiiiiiiiiiii.uses_vcc, or(1, .L_ZL14no_device_codePKciS0_iS0_.uses_vcc)
	.set _ZL9mul_mat_fIfLi32ELi3ELi1ELb1EEvPKT_PKfPKiPfiiiiiiiiiiiiiiii.uses_flat_scratch, or(0, .L_ZL14no_device_codePKciS0_iS0_.uses_flat_scratch)
	.set _ZL9mul_mat_fIfLi32ELi3ELi1ELb1EEvPKT_PKfPKiPfiiiiiiiiiiiiiiii.has_dyn_sized_stack, or(0, .L_ZL14no_device_codePKciS0_iS0_.has_dyn_sized_stack)
	.set _ZL9mul_mat_fIfLi32ELi3ELi1ELb1EEvPKT_PKfPKiPfiiiiiiiiiiiiiiii.has_recursion, or(0, .L_ZL14no_device_codePKciS0_iS0_.has_recursion)
	.set _ZL9mul_mat_fIfLi32ELi3ELi1ELb1EEvPKT_PKfPKiPfiiiiiiiiiiiiiiii.has_indirect_call, or(0, .L_ZL14no_device_codePKciS0_iS0_.has_indirect_call)
	.section	.AMDGPU.csdata,"",@progbits
; Kernel info:
; codeLenInByte = 84
; TotalNumSgprs: 38
; NumVgprs: 38
; ScratchSize: 16
; MemoryBound: 0
; FloatMode: 240
; IeeeMode: 1
; LDSByteSize: 0 bytes/workgroup (compile time only)
; SGPRBlocks: 4
; VGPRBlocks: 9
; NumSGPRsForWavesPerEU: 38
; NumVGPRsForWavesPerEU: 38
; Occupancy: 6
; WaveLimiterHint : 1
; COMPUTE_PGM_RSRC2:SCRATCH_EN: 1
; COMPUTE_PGM_RSRC2:USER_SGPR: 6
; COMPUTE_PGM_RSRC2:TRAP_HANDLER: 0
; COMPUTE_PGM_RSRC2:TGID_X_EN: 1
; COMPUTE_PGM_RSRC2:TGID_Y_EN: 0
; COMPUTE_PGM_RSRC2:TGID_Z_EN: 0
; COMPUTE_PGM_RSRC2:TIDIG_COMP_CNT: 0
	.section	.text._ZL9mul_mat_fIfLi32ELi3ELi1ELb0EEvPKT_PKfPKiPfiiiiiiiiiiiiiiii,"axG",@progbits,_ZL9mul_mat_fIfLi32ELi3ELi1ELb0EEvPKT_PKfPKiPfiiiiiiiiiiiiiiii,comdat
	.globl	_ZL9mul_mat_fIfLi32ELi3ELi1ELb0EEvPKT_PKfPKiPfiiiiiiiiiiiiiiii ; -- Begin function _ZL9mul_mat_fIfLi32ELi3ELi1ELb0EEvPKT_PKfPKiPfiiiiiiiiiiiiiiii
	.p2align	8
	.type	_ZL9mul_mat_fIfLi32ELi3ELi1ELb0EEvPKT_PKfPKiPfiiiiiiiiiiiiiiii,@function
_ZL9mul_mat_fIfLi32ELi3ELi1ELb0EEvPKT_PKfPKiPfiiiiiiiiiiiiiiii: ; @_ZL9mul_mat_fIfLi32ELi3ELi1ELb0EEvPKT_PKfPKiPfiiiiiiiiiiiiiiii
; %bb.0:
	s_add_u32 s0, s0, s7
	s_addc_u32 s1, s1, 0
	s_add_u32 s8, s4, 0x60
	s_addc_u32 s9, s5, 0
	s_getpc_b64 s[4:5]
	s_add_u32 s4, s4, __FUNCTION__._ZL9mul_mat_fIfLi32ELi3ELi1ELb1EEvPKT_PKfPKiPfiiiiiiiiiiiiiiii@rel32@lo+4
	s_addc_u32 s5, s5, __FUNCTION__._ZL9mul_mat_fIfLi32ELi3ELi1ELb1EEvPKT_PKfPKiPfiiiiiiiiiiiiiiii@rel32@hi+12
	s_getpc_b64 s[6:7]
	s_add_u32 s6, s6, _ZL14no_device_codePKciS0_iS0_@rel32@lo+4
	s_addc_u32 s7, s7, _ZL14no_device_codePKciS0_iS0_@rel32@hi+12
	v_mov_b32_e32 v0, 0x124
	v_mov_b32_e32 v1, s4
	;; [unrolled: 1-line block ×3, first 2 shown]
	s_mov_b32 s32, 0
	s_swappc_b64 s[30:31], s[6:7]
	.section	.rodata,"a",@progbits
	.p2align	6, 0x0
	.amdhsa_kernel _ZL9mul_mat_fIfLi32ELi3ELi1ELb0EEvPKT_PKfPKiPfiiiiiiiiiiiiiiii
		.amdhsa_group_segment_fixed_size 0
		.amdhsa_private_segment_fixed_size 16
		.amdhsa_kernarg_size 352
		.amdhsa_user_sgpr_count 6
		.amdhsa_user_sgpr_private_segment_buffer 1
		.amdhsa_user_sgpr_dispatch_ptr 0
		.amdhsa_user_sgpr_queue_ptr 0
		.amdhsa_user_sgpr_kernarg_segment_ptr 1
		.amdhsa_user_sgpr_dispatch_id 0
		.amdhsa_user_sgpr_flat_scratch_init 0
		.amdhsa_user_sgpr_private_segment_size 0
		.amdhsa_uses_dynamic_stack 0
		.amdhsa_system_sgpr_private_segment_wavefront_offset 1
		.amdhsa_system_sgpr_workgroup_id_x 1
		.amdhsa_system_sgpr_workgroup_id_y 0
		.amdhsa_system_sgpr_workgroup_id_z 0
		.amdhsa_system_sgpr_workgroup_info 0
		.amdhsa_system_vgpr_workitem_id 0
		.amdhsa_next_free_vgpr 38
		.amdhsa_next_free_sgpr 34
		.amdhsa_reserve_vcc 1
		.amdhsa_reserve_flat_scratch 0
		.amdhsa_float_round_mode_32 0
		.amdhsa_float_round_mode_16_64 0
		.amdhsa_float_denorm_mode_32 3
		.amdhsa_float_denorm_mode_16_64 3
		.amdhsa_dx10_clamp 1
		.amdhsa_ieee_mode 1
		.amdhsa_fp16_overflow 0
		.amdhsa_exception_fp_ieee_invalid_op 0
		.amdhsa_exception_fp_denorm_src 0
		.amdhsa_exception_fp_ieee_div_zero 0
		.amdhsa_exception_fp_ieee_overflow 0
		.amdhsa_exception_fp_ieee_underflow 0
		.amdhsa_exception_fp_ieee_inexact 0
		.amdhsa_exception_int_div_zero 0
	.end_amdhsa_kernel
	.section	.text._ZL9mul_mat_fIfLi32ELi3ELi1ELb0EEvPKT_PKfPKiPfiiiiiiiiiiiiiiii,"axG",@progbits,_ZL9mul_mat_fIfLi32ELi3ELi1ELb0EEvPKT_PKfPKiPfiiiiiiiiiiiiiiii,comdat
.Lfunc_end5:
	.size	_ZL9mul_mat_fIfLi32ELi3ELi1ELb0EEvPKT_PKfPKiPfiiiiiiiiiiiiiiii, .Lfunc_end5-_ZL9mul_mat_fIfLi32ELi3ELi1ELb0EEvPKT_PKfPKiPfiiiiiiiiiiiiiiii
                                        ; -- End function
	.set _ZL9mul_mat_fIfLi32ELi3ELi1ELb0EEvPKT_PKfPKiPfiiiiiiiiiiiiiiii.num_vgpr, max(3, .L_ZL14no_device_codePKciS0_iS0_.num_vgpr)
	.set _ZL9mul_mat_fIfLi32ELi3ELi1ELb0EEvPKT_PKfPKiPfiiiiiiiiiiiiiiii.num_agpr, max(0, .L_ZL14no_device_codePKciS0_iS0_.num_agpr)
	.set _ZL9mul_mat_fIfLi32ELi3ELi1ELb0EEvPKT_PKfPKiPfiiiiiiiiiiiiiiii.numbered_sgpr, max(33, .L_ZL14no_device_codePKciS0_iS0_.numbered_sgpr)
	.set _ZL9mul_mat_fIfLi32ELi3ELi1ELb0EEvPKT_PKfPKiPfiiiiiiiiiiiiiiii.num_named_barrier, max(0, .L_ZL14no_device_codePKciS0_iS0_.num_named_barrier)
	.set _ZL9mul_mat_fIfLi32ELi3ELi1ELb0EEvPKT_PKfPKiPfiiiiiiiiiiiiiiii.private_seg_size, 0+max(.L_ZL14no_device_codePKciS0_iS0_.private_seg_size)
	.set _ZL9mul_mat_fIfLi32ELi3ELi1ELb0EEvPKT_PKfPKiPfiiiiiiiiiiiiiiii.uses_vcc, or(1, .L_ZL14no_device_codePKciS0_iS0_.uses_vcc)
	.set _ZL9mul_mat_fIfLi32ELi3ELi1ELb0EEvPKT_PKfPKiPfiiiiiiiiiiiiiiii.uses_flat_scratch, or(0, .L_ZL14no_device_codePKciS0_iS0_.uses_flat_scratch)
	.set _ZL9mul_mat_fIfLi32ELi3ELi1ELb0EEvPKT_PKfPKiPfiiiiiiiiiiiiiiii.has_dyn_sized_stack, or(0, .L_ZL14no_device_codePKciS0_iS0_.has_dyn_sized_stack)
	.set _ZL9mul_mat_fIfLi32ELi3ELi1ELb0EEvPKT_PKfPKiPfiiiiiiiiiiiiiiii.has_recursion, or(0, .L_ZL14no_device_codePKciS0_iS0_.has_recursion)
	.set _ZL9mul_mat_fIfLi32ELi3ELi1ELb0EEvPKT_PKfPKiPfiiiiiiiiiiiiiiii.has_indirect_call, or(0, .L_ZL14no_device_codePKciS0_iS0_.has_indirect_call)
	.section	.AMDGPU.csdata,"",@progbits
; Kernel info:
; codeLenInByte = 84
; TotalNumSgprs: 38
; NumVgprs: 38
; ScratchSize: 16
; MemoryBound: 0
; FloatMode: 240
; IeeeMode: 1
; LDSByteSize: 0 bytes/workgroup (compile time only)
; SGPRBlocks: 4
; VGPRBlocks: 9
; NumSGPRsForWavesPerEU: 38
; NumVGPRsForWavesPerEU: 38
; Occupancy: 6
; WaveLimiterHint : 1
; COMPUTE_PGM_RSRC2:SCRATCH_EN: 1
; COMPUTE_PGM_RSRC2:USER_SGPR: 6
; COMPUTE_PGM_RSRC2:TRAP_HANDLER: 0
; COMPUTE_PGM_RSRC2:TGID_X_EN: 1
; COMPUTE_PGM_RSRC2:TGID_Y_EN: 0
; COMPUTE_PGM_RSRC2:TGID_Z_EN: 0
; COMPUTE_PGM_RSRC2:TIDIG_COMP_CNT: 0
	.section	.text._ZL13mul_mat_f_idsIfLi32ELi3ELi2EEvPKT_PKfPKiS6_S6_Pfiiiiiiiiiiiiii15HIP_vector_typeIjLj3EES9_,"axG",@progbits,_ZL13mul_mat_f_idsIfLi32ELi3ELi2EEvPKT_PKfPKiS6_S6_Pfiiiiiiiiiiiiii15HIP_vector_typeIjLj3EES9_,comdat
	.globl	_ZL13mul_mat_f_idsIfLi32ELi3ELi2EEvPKT_PKfPKiS6_S6_Pfiiiiiiiiiiiiii15HIP_vector_typeIjLj3EES9_ ; -- Begin function _ZL13mul_mat_f_idsIfLi32ELi3ELi2EEvPKT_PKfPKiS6_S6_Pfiiiiiiiiiiiiii15HIP_vector_typeIjLj3EES9_
	.p2align	8
	.type	_ZL13mul_mat_f_idsIfLi32ELi3ELi2EEvPKT_PKfPKiS6_S6_Pfiiiiiiiiiiiiii15HIP_vector_typeIjLj3EES9_,@function
_ZL13mul_mat_f_idsIfLi32ELi3ELi2EEvPKT_PKfPKiS6_S6_Pfiiiiiiiiiiiiii15HIP_vector_typeIjLj3EES9_: ; @_ZL13mul_mat_f_idsIfLi32ELi3ELi2EEvPKT_PKfPKiS6_S6_Pfiiiiiiiiiiiiii15HIP_vector_typeIjLj3EES9_
; %bb.0:
	s_add_u32 s0, s0, s7
	s_addc_u32 s1, s1, 0
	s_add_u32 s8, s4, 0x80
	s_addc_u32 s9, s5, 0
	s_getpc_b64 s[4:5]
	s_add_u32 s4, s4, __FUNCTION__._ZL13mul_mat_f_idsIfLi32ELi3ELi1EEvPKT_PKfPKiS6_S6_Pfiiiiiiiiiiiiii15HIP_vector_typeIjLj3EES9_@rel32@lo+4
	s_addc_u32 s5, s5, __FUNCTION__._ZL13mul_mat_f_idsIfLi32ELi3ELi1EEvPKT_PKfPKiS6_S6_Pfiiiiiiiiiiiiii15HIP_vector_typeIjLj3EES9_@rel32@hi+12
	s_getpc_b64 s[6:7]
	s_add_u32 s6, s6, _ZL14no_device_codePKciS0_iS0_@rel32@lo+4
	s_addc_u32 s7, s7, _ZL14no_device_codePKciS0_iS0_@rel32@hi+12
	v_mov_b32_e32 v0, 0x238
	v_mov_b32_e32 v1, s4
	;; [unrolled: 1-line block ×3, first 2 shown]
	s_mov_b32 s32, 0
	s_swappc_b64 s[30:31], s[6:7]
	.section	.rodata,"a",@progbits
	.p2align	6, 0x0
	.amdhsa_kernel _ZL13mul_mat_f_idsIfLi32ELi3ELi2EEvPKT_PKfPKiS6_S6_Pfiiiiiiiiiiiiii15HIP_vector_typeIjLj3EES9_
		.amdhsa_group_segment_fixed_size 0
		.amdhsa_private_segment_fixed_size 16
		.amdhsa_kernarg_size 384
		.amdhsa_user_sgpr_count 6
		.amdhsa_user_sgpr_private_segment_buffer 1
		.amdhsa_user_sgpr_dispatch_ptr 0
		.amdhsa_user_sgpr_queue_ptr 0
		.amdhsa_user_sgpr_kernarg_segment_ptr 1
		.amdhsa_user_sgpr_dispatch_id 0
		.amdhsa_user_sgpr_flat_scratch_init 0
		.amdhsa_user_sgpr_private_segment_size 0
		.amdhsa_uses_dynamic_stack 0
		.amdhsa_system_sgpr_private_segment_wavefront_offset 1
		.amdhsa_system_sgpr_workgroup_id_x 1
		.amdhsa_system_sgpr_workgroup_id_y 0
		.amdhsa_system_sgpr_workgroup_id_z 0
		.amdhsa_system_sgpr_workgroup_info 0
		.amdhsa_system_vgpr_workitem_id 0
		.amdhsa_next_free_vgpr 38
		.amdhsa_next_free_sgpr 34
		.amdhsa_reserve_vcc 1
		.amdhsa_reserve_flat_scratch 0
		.amdhsa_float_round_mode_32 0
		.amdhsa_float_round_mode_16_64 0
		.amdhsa_float_denorm_mode_32 3
		.amdhsa_float_denorm_mode_16_64 3
		.amdhsa_dx10_clamp 1
		.amdhsa_ieee_mode 1
		.amdhsa_fp16_overflow 0
		.amdhsa_exception_fp_ieee_invalid_op 0
		.amdhsa_exception_fp_denorm_src 0
		.amdhsa_exception_fp_ieee_div_zero 0
		.amdhsa_exception_fp_ieee_overflow 0
		.amdhsa_exception_fp_ieee_underflow 0
		.amdhsa_exception_fp_ieee_inexact 0
		.amdhsa_exception_int_div_zero 0
	.end_amdhsa_kernel
	.section	.text._ZL13mul_mat_f_idsIfLi32ELi3ELi2EEvPKT_PKfPKiS6_S6_Pfiiiiiiiiiiiiii15HIP_vector_typeIjLj3EES9_,"axG",@progbits,_ZL13mul_mat_f_idsIfLi32ELi3ELi2EEvPKT_PKfPKiS6_S6_Pfiiiiiiiiiiiiii15HIP_vector_typeIjLj3EES9_,comdat
.Lfunc_end6:
	.size	_ZL13mul_mat_f_idsIfLi32ELi3ELi2EEvPKT_PKfPKiS6_S6_Pfiiiiiiiiiiiiii15HIP_vector_typeIjLj3EES9_, .Lfunc_end6-_ZL13mul_mat_f_idsIfLi32ELi3ELi2EEvPKT_PKfPKiS6_S6_Pfiiiiiiiiiiiiii15HIP_vector_typeIjLj3EES9_
                                        ; -- End function
	.set _ZL13mul_mat_f_idsIfLi32ELi3ELi2EEvPKT_PKfPKiS6_S6_Pfiiiiiiiiiiiiii15HIP_vector_typeIjLj3EES9_.num_vgpr, max(3, .L_ZL14no_device_codePKciS0_iS0_.num_vgpr)
	.set _ZL13mul_mat_f_idsIfLi32ELi3ELi2EEvPKT_PKfPKiS6_S6_Pfiiiiiiiiiiiiii15HIP_vector_typeIjLj3EES9_.num_agpr, max(0, .L_ZL14no_device_codePKciS0_iS0_.num_agpr)
	.set _ZL13mul_mat_f_idsIfLi32ELi3ELi2EEvPKT_PKfPKiS6_S6_Pfiiiiiiiiiiiiii15HIP_vector_typeIjLj3EES9_.numbered_sgpr, max(33, .L_ZL14no_device_codePKciS0_iS0_.numbered_sgpr)
	.set _ZL13mul_mat_f_idsIfLi32ELi3ELi2EEvPKT_PKfPKiS6_S6_Pfiiiiiiiiiiiiii15HIP_vector_typeIjLj3EES9_.num_named_barrier, max(0, .L_ZL14no_device_codePKciS0_iS0_.num_named_barrier)
	.set _ZL13mul_mat_f_idsIfLi32ELi3ELi2EEvPKT_PKfPKiS6_S6_Pfiiiiiiiiiiiiii15HIP_vector_typeIjLj3EES9_.private_seg_size, 0+max(.L_ZL14no_device_codePKciS0_iS0_.private_seg_size)
	.set _ZL13mul_mat_f_idsIfLi32ELi3ELi2EEvPKT_PKfPKiS6_S6_Pfiiiiiiiiiiiiii15HIP_vector_typeIjLj3EES9_.uses_vcc, or(1, .L_ZL14no_device_codePKciS0_iS0_.uses_vcc)
	.set _ZL13mul_mat_f_idsIfLi32ELi3ELi2EEvPKT_PKfPKiS6_S6_Pfiiiiiiiiiiiiii15HIP_vector_typeIjLj3EES9_.uses_flat_scratch, or(0, .L_ZL14no_device_codePKciS0_iS0_.uses_flat_scratch)
	.set _ZL13mul_mat_f_idsIfLi32ELi3ELi2EEvPKT_PKfPKiS6_S6_Pfiiiiiiiiiiiiii15HIP_vector_typeIjLj3EES9_.has_dyn_sized_stack, or(0, .L_ZL14no_device_codePKciS0_iS0_.has_dyn_sized_stack)
	.set _ZL13mul_mat_f_idsIfLi32ELi3ELi2EEvPKT_PKfPKiS6_S6_Pfiiiiiiiiiiiiii15HIP_vector_typeIjLj3EES9_.has_recursion, or(0, .L_ZL14no_device_codePKciS0_iS0_.has_recursion)
	.set _ZL13mul_mat_f_idsIfLi32ELi3ELi2EEvPKT_PKfPKiS6_S6_Pfiiiiiiiiiiiiii15HIP_vector_typeIjLj3EES9_.has_indirect_call, or(0, .L_ZL14no_device_codePKciS0_iS0_.has_indirect_call)
	.section	.AMDGPU.csdata,"",@progbits
; Kernel info:
; codeLenInByte = 84
; TotalNumSgprs: 38
; NumVgprs: 38
; ScratchSize: 16
; MemoryBound: 0
; FloatMode: 240
; IeeeMode: 1
; LDSByteSize: 0 bytes/workgroup (compile time only)
; SGPRBlocks: 4
; VGPRBlocks: 9
; NumSGPRsForWavesPerEU: 38
; NumVGPRsForWavesPerEU: 38
; Occupancy: 6
; WaveLimiterHint : 1
; COMPUTE_PGM_RSRC2:SCRATCH_EN: 1
; COMPUTE_PGM_RSRC2:USER_SGPR: 6
; COMPUTE_PGM_RSRC2:TRAP_HANDLER: 0
; COMPUTE_PGM_RSRC2:TGID_X_EN: 1
; COMPUTE_PGM_RSRC2:TGID_Y_EN: 0
; COMPUTE_PGM_RSRC2:TGID_Z_EN: 0
; COMPUTE_PGM_RSRC2:TIDIG_COMP_CNT: 0
	.section	.text._ZL9mul_mat_fIfLi32ELi3ELi2ELb1EEvPKT_PKfPKiPfiiiiiiiiiiiiiiii,"axG",@progbits,_ZL9mul_mat_fIfLi32ELi3ELi2ELb1EEvPKT_PKfPKiPfiiiiiiiiiiiiiiii,comdat
	.globl	_ZL9mul_mat_fIfLi32ELi3ELi2ELb1EEvPKT_PKfPKiPfiiiiiiiiiiiiiiii ; -- Begin function _ZL9mul_mat_fIfLi32ELi3ELi2ELb1EEvPKT_PKfPKiPfiiiiiiiiiiiiiiii
	.p2align	8
	.type	_ZL9mul_mat_fIfLi32ELi3ELi2ELb1EEvPKT_PKfPKiPfiiiiiiiiiiiiiiii,@function
_ZL9mul_mat_fIfLi32ELi3ELi2ELb1EEvPKT_PKfPKiPfiiiiiiiiiiiiiiii: ; @_ZL9mul_mat_fIfLi32ELi3ELi2ELb1EEvPKT_PKfPKiPfiiiiiiiiiiiiiiii
; %bb.0:
	s_add_u32 s0, s0, s7
	s_addc_u32 s1, s1, 0
	s_add_u32 s8, s4, 0x60
	s_addc_u32 s9, s5, 0
	s_getpc_b64 s[4:5]
	s_add_u32 s4, s4, __FUNCTION__._ZL9mul_mat_fIfLi32ELi3ELi1ELb1EEvPKT_PKfPKiPfiiiiiiiiiiiiiiii@rel32@lo+4
	s_addc_u32 s5, s5, __FUNCTION__._ZL9mul_mat_fIfLi32ELi3ELi1ELb1EEvPKT_PKfPKiPfiiiiiiiiiiiiiiii@rel32@hi+12
	s_getpc_b64 s[6:7]
	s_add_u32 s6, s6, _ZL14no_device_codePKciS0_iS0_@rel32@lo+4
	s_addc_u32 s7, s7, _ZL14no_device_codePKciS0_iS0_@rel32@hi+12
	v_mov_b32_e32 v0, 0x124
	v_mov_b32_e32 v1, s4
	;; [unrolled: 1-line block ×3, first 2 shown]
	s_mov_b32 s32, 0
	s_swappc_b64 s[30:31], s[6:7]
	.section	.rodata,"a",@progbits
	.p2align	6, 0x0
	.amdhsa_kernel _ZL9mul_mat_fIfLi32ELi3ELi2ELb1EEvPKT_PKfPKiPfiiiiiiiiiiiiiiii
		.amdhsa_group_segment_fixed_size 0
		.amdhsa_private_segment_fixed_size 16
		.amdhsa_kernarg_size 352
		.amdhsa_user_sgpr_count 6
		.amdhsa_user_sgpr_private_segment_buffer 1
		.amdhsa_user_sgpr_dispatch_ptr 0
		.amdhsa_user_sgpr_queue_ptr 0
		.amdhsa_user_sgpr_kernarg_segment_ptr 1
		.amdhsa_user_sgpr_dispatch_id 0
		.amdhsa_user_sgpr_flat_scratch_init 0
		.amdhsa_user_sgpr_private_segment_size 0
		.amdhsa_uses_dynamic_stack 0
		.amdhsa_system_sgpr_private_segment_wavefront_offset 1
		.amdhsa_system_sgpr_workgroup_id_x 1
		.amdhsa_system_sgpr_workgroup_id_y 0
		.amdhsa_system_sgpr_workgroup_id_z 0
		.amdhsa_system_sgpr_workgroup_info 0
		.amdhsa_system_vgpr_workitem_id 0
		.amdhsa_next_free_vgpr 38
		.amdhsa_next_free_sgpr 34
		.amdhsa_reserve_vcc 1
		.amdhsa_reserve_flat_scratch 0
		.amdhsa_float_round_mode_32 0
		.amdhsa_float_round_mode_16_64 0
		.amdhsa_float_denorm_mode_32 3
		.amdhsa_float_denorm_mode_16_64 3
		.amdhsa_dx10_clamp 1
		.amdhsa_ieee_mode 1
		.amdhsa_fp16_overflow 0
		.amdhsa_exception_fp_ieee_invalid_op 0
		.amdhsa_exception_fp_denorm_src 0
		.amdhsa_exception_fp_ieee_div_zero 0
		.amdhsa_exception_fp_ieee_overflow 0
		.amdhsa_exception_fp_ieee_underflow 0
		.amdhsa_exception_fp_ieee_inexact 0
		.amdhsa_exception_int_div_zero 0
	.end_amdhsa_kernel
	.section	.text._ZL9mul_mat_fIfLi32ELi3ELi2ELb1EEvPKT_PKfPKiPfiiiiiiiiiiiiiiii,"axG",@progbits,_ZL9mul_mat_fIfLi32ELi3ELi2ELb1EEvPKT_PKfPKiPfiiiiiiiiiiiiiiii,comdat
.Lfunc_end7:
	.size	_ZL9mul_mat_fIfLi32ELi3ELi2ELb1EEvPKT_PKfPKiPfiiiiiiiiiiiiiiii, .Lfunc_end7-_ZL9mul_mat_fIfLi32ELi3ELi2ELb1EEvPKT_PKfPKiPfiiiiiiiiiiiiiiii
                                        ; -- End function
	.set _ZL9mul_mat_fIfLi32ELi3ELi2ELb1EEvPKT_PKfPKiPfiiiiiiiiiiiiiiii.num_vgpr, max(3, .L_ZL14no_device_codePKciS0_iS0_.num_vgpr)
	.set _ZL9mul_mat_fIfLi32ELi3ELi2ELb1EEvPKT_PKfPKiPfiiiiiiiiiiiiiiii.num_agpr, max(0, .L_ZL14no_device_codePKciS0_iS0_.num_agpr)
	.set _ZL9mul_mat_fIfLi32ELi3ELi2ELb1EEvPKT_PKfPKiPfiiiiiiiiiiiiiiii.numbered_sgpr, max(33, .L_ZL14no_device_codePKciS0_iS0_.numbered_sgpr)
	.set _ZL9mul_mat_fIfLi32ELi3ELi2ELb1EEvPKT_PKfPKiPfiiiiiiiiiiiiiiii.num_named_barrier, max(0, .L_ZL14no_device_codePKciS0_iS0_.num_named_barrier)
	.set _ZL9mul_mat_fIfLi32ELi3ELi2ELb1EEvPKT_PKfPKiPfiiiiiiiiiiiiiiii.private_seg_size, 0+max(.L_ZL14no_device_codePKciS0_iS0_.private_seg_size)
	.set _ZL9mul_mat_fIfLi32ELi3ELi2ELb1EEvPKT_PKfPKiPfiiiiiiiiiiiiiiii.uses_vcc, or(1, .L_ZL14no_device_codePKciS0_iS0_.uses_vcc)
	.set _ZL9mul_mat_fIfLi32ELi3ELi2ELb1EEvPKT_PKfPKiPfiiiiiiiiiiiiiiii.uses_flat_scratch, or(0, .L_ZL14no_device_codePKciS0_iS0_.uses_flat_scratch)
	.set _ZL9mul_mat_fIfLi32ELi3ELi2ELb1EEvPKT_PKfPKiPfiiiiiiiiiiiiiiii.has_dyn_sized_stack, or(0, .L_ZL14no_device_codePKciS0_iS0_.has_dyn_sized_stack)
	.set _ZL9mul_mat_fIfLi32ELi3ELi2ELb1EEvPKT_PKfPKiPfiiiiiiiiiiiiiiii.has_recursion, or(0, .L_ZL14no_device_codePKciS0_iS0_.has_recursion)
	.set _ZL9mul_mat_fIfLi32ELi3ELi2ELb1EEvPKT_PKfPKiPfiiiiiiiiiiiiiiii.has_indirect_call, or(0, .L_ZL14no_device_codePKciS0_iS0_.has_indirect_call)
	.section	.AMDGPU.csdata,"",@progbits
; Kernel info:
; codeLenInByte = 84
; TotalNumSgprs: 38
; NumVgprs: 38
; ScratchSize: 16
; MemoryBound: 0
; FloatMode: 240
; IeeeMode: 1
; LDSByteSize: 0 bytes/workgroup (compile time only)
; SGPRBlocks: 4
; VGPRBlocks: 9
; NumSGPRsForWavesPerEU: 38
; NumVGPRsForWavesPerEU: 38
; Occupancy: 6
; WaveLimiterHint : 1
; COMPUTE_PGM_RSRC2:SCRATCH_EN: 1
; COMPUTE_PGM_RSRC2:USER_SGPR: 6
; COMPUTE_PGM_RSRC2:TRAP_HANDLER: 0
; COMPUTE_PGM_RSRC2:TGID_X_EN: 1
; COMPUTE_PGM_RSRC2:TGID_Y_EN: 0
; COMPUTE_PGM_RSRC2:TGID_Z_EN: 0
; COMPUTE_PGM_RSRC2:TIDIG_COMP_CNT: 0
	.section	.text._ZL9mul_mat_fIfLi32ELi3ELi2ELb0EEvPKT_PKfPKiPfiiiiiiiiiiiiiiii,"axG",@progbits,_ZL9mul_mat_fIfLi32ELi3ELi2ELb0EEvPKT_PKfPKiPfiiiiiiiiiiiiiiii,comdat
	.globl	_ZL9mul_mat_fIfLi32ELi3ELi2ELb0EEvPKT_PKfPKiPfiiiiiiiiiiiiiiii ; -- Begin function _ZL9mul_mat_fIfLi32ELi3ELi2ELb0EEvPKT_PKfPKiPfiiiiiiiiiiiiiiii
	.p2align	8
	.type	_ZL9mul_mat_fIfLi32ELi3ELi2ELb0EEvPKT_PKfPKiPfiiiiiiiiiiiiiiii,@function
_ZL9mul_mat_fIfLi32ELi3ELi2ELb0EEvPKT_PKfPKiPfiiiiiiiiiiiiiiii: ; @_ZL9mul_mat_fIfLi32ELi3ELi2ELb0EEvPKT_PKfPKiPfiiiiiiiiiiiiiiii
; %bb.0:
	s_add_u32 s0, s0, s7
	s_addc_u32 s1, s1, 0
	s_add_u32 s8, s4, 0x60
	s_addc_u32 s9, s5, 0
	s_getpc_b64 s[4:5]
	s_add_u32 s4, s4, __FUNCTION__._ZL9mul_mat_fIfLi32ELi3ELi1ELb1EEvPKT_PKfPKiPfiiiiiiiiiiiiiiii@rel32@lo+4
	s_addc_u32 s5, s5, __FUNCTION__._ZL9mul_mat_fIfLi32ELi3ELi1ELb1EEvPKT_PKfPKiPfiiiiiiiiiiiiiiii@rel32@hi+12
	s_getpc_b64 s[6:7]
	s_add_u32 s6, s6, _ZL14no_device_codePKciS0_iS0_@rel32@lo+4
	s_addc_u32 s7, s7, _ZL14no_device_codePKciS0_iS0_@rel32@hi+12
	v_mov_b32_e32 v0, 0x124
	v_mov_b32_e32 v1, s4
	;; [unrolled: 1-line block ×3, first 2 shown]
	s_mov_b32 s32, 0
	s_swappc_b64 s[30:31], s[6:7]
	.section	.rodata,"a",@progbits
	.p2align	6, 0x0
	.amdhsa_kernel _ZL9mul_mat_fIfLi32ELi3ELi2ELb0EEvPKT_PKfPKiPfiiiiiiiiiiiiiiii
		.amdhsa_group_segment_fixed_size 0
		.amdhsa_private_segment_fixed_size 16
		.amdhsa_kernarg_size 352
		.amdhsa_user_sgpr_count 6
		.amdhsa_user_sgpr_private_segment_buffer 1
		.amdhsa_user_sgpr_dispatch_ptr 0
		.amdhsa_user_sgpr_queue_ptr 0
		.amdhsa_user_sgpr_kernarg_segment_ptr 1
		.amdhsa_user_sgpr_dispatch_id 0
		.amdhsa_user_sgpr_flat_scratch_init 0
		.amdhsa_user_sgpr_private_segment_size 0
		.amdhsa_uses_dynamic_stack 0
		.amdhsa_system_sgpr_private_segment_wavefront_offset 1
		.amdhsa_system_sgpr_workgroup_id_x 1
		.amdhsa_system_sgpr_workgroup_id_y 0
		.amdhsa_system_sgpr_workgroup_id_z 0
		.amdhsa_system_sgpr_workgroup_info 0
		.amdhsa_system_vgpr_workitem_id 0
		.amdhsa_next_free_vgpr 38
		.amdhsa_next_free_sgpr 34
		.amdhsa_reserve_vcc 1
		.amdhsa_reserve_flat_scratch 0
		.amdhsa_float_round_mode_32 0
		.amdhsa_float_round_mode_16_64 0
		.amdhsa_float_denorm_mode_32 3
		.amdhsa_float_denorm_mode_16_64 3
		.amdhsa_dx10_clamp 1
		.amdhsa_ieee_mode 1
		.amdhsa_fp16_overflow 0
		.amdhsa_exception_fp_ieee_invalid_op 0
		.amdhsa_exception_fp_denorm_src 0
		.amdhsa_exception_fp_ieee_div_zero 0
		.amdhsa_exception_fp_ieee_overflow 0
		.amdhsa_exception_fp_ieee_underflow 0
		.amdhsa_exception_fp_ieee_inexact 0
		.amdhsa_exception_int_div_zero 0
	.end_amdhsa_kernel
	.section	.text._ZL9mul_mat_fIfLi32ELi3ELi2ELb0EEvPKT_PKfPKiPfiiiiiiiiiiiiiiii,"axG",@progbits,_ZL9mul_mat_fIfLi32ELi3ELi2ELb0EEvPKT_PKfPKiPfiiiiiiiiiiiiiiii,comdat
.Lfunc_end8:
	.size	_ZL9mul_mat_fIfLi32ELi3ELi2ELb0EEvPKT_PKfPKiPfiiiiiiiiiiiiiiii, .Lfunc_end8-_ZL9mul_mat_fIfLi32ELi3ELi2ELb0EEvPKT_PKfPKiPfiiiiiiiiiiiiiiii
                                        ; -- End function
	.set _ZL9mul_mat_fIfLi32ELi3ELi2ELb0EEvPKT_PKfPKiPfiiiiiiiiiiiiiiii.num_vgpr, max(3, .L_ZL14no_device_codePKciS0_iS0_.num_vgpr)
	.set _ZL9mul_mat_fIfLi32ELi3ELi2ELb0EEvPKT_PKfPKiPfiiiiiiiiiiiiiiii.num_agpr, max(0, .L_ZL14no_device_codePKciS0_iS0_.num_agpr)
	.set _ZL9mul_mat_fIfLi32ELi3ELi2ELb0EEvPKT_PKfPKiPfiiiiiiiiiiiiiiii.numbered_sgpr, max(33, .L_ZL14no_device_codePKciS0_iS0_.numbered_sgpr)
	.set _ZL9mul_mat_fIfLi32ELi3ELi2ELb0EEvPKT_PKfPKiPfiiiiiiiiiiiiiiii.num_named_barrier, max(0, .L_ZL14no_device_codePKciS0_iS0_.num_named_barrier)
	.set _ZL9mul_mat_fIfLi32ELi3ELi2ELb0EEvPKT_PKfPKiPfiiiiiiiiiiiiiiii.private_seg_size, 0+max(.L_ZL14no_device_codePKciS0_iS0_.private_seg_size)
	.set _ZL9mul_mat_fIfLi32ELi3ELi2ELb0EEvPKT_PKfPKiPfiiiiiiiiiiiiiiii.uses_vcc, or(1, .L_ZL14no_device_codePKciS0_iS0_.uses_vcc)
	.set _ZL9mul_mat_fIfLi32ELi3ELi2ELb0EEvPKT_PKfPKiPfiiiiiiiiiiiiiiii.uses_flat_scratch, or(0, .L_ZL14no_device_codePKciS0_iS0_.uses_flat_scratch)
	.set _ZL9mul_mat_fIfLi32ELi3ELi2ELb0EEvPKT_PKfPKiPfiiiiiiiiiiiiiiii.has_dyn_sized_stack, or(0, .L_ZL14no_device_codePKciS0_iS0_.has_dyn_sized_stack)
	.set _ZL9mul_mat_fIfLi32ELi3ELi2ELb0EEvPKT_PKfPKiPfiiiiiiiiiiiiiiii.has_recursion, or(0, .L_ZL14no_device_codePKciS0_iS0_.has_recursion)
	.set _ZL9mul_mat_fIfLi32ELi3ELi2ELb0EEvPKT_PKfPKiPfiiiiiiiiiiiiiiii.has_indirect_call, or(0, .L_ZL14no_device_codePKciS0_iS0_.has_indirect_call)
	.section	.AMDGPU.csdata,"",@progbits
; Kernel info:
; codeLenInByte = 84
; TotalNumSgprs: 38
; NumVgprs: 38
; ScratchSize: 16
; MemoryBound: 0
; FloatMode: 240
; IeeeMode: 1
; LDSByteSize: 0 bytes/workgroup (compile time only)
; SGPRBlocks: 4
; VGPRBlocks: 9
; NumSGPRsForWavesPerEU: 38
; NumVGPRsForWavesPerEU: 38
; Occupancy: 6
; WaveLimiterHint : 1
; COMPUTE_PGM_RSRC2:SCRATCH_EN: 1
; COMPUTE_PGM_RSRC2:USER_SGPR: 6
; COMPUTE_PGM_RSRC2:TRAP_HANDLER: 0
; COMPUTE_PGM_RSRC2:TGID_X_EN: 1
; COMPUTE_PGM_RSRC2:TGID_Y_EN: 0
; COMPUTE_PGM_RSRC2:TGID_Z_EN: 0
; COMPUTE_PGM_RSRC2:TIDIG_COMP_CNT: 0
	.section	.text._ZL13mul_mat_f_idsIfLi32ELi3ELi3EEvPKT_PKfPKiS6_S6_Pfiiiiiiiiiiiiii15HIP_vector_typeIjLj3EES9_,"axG",@progbits,_ZL13mul_mat_f_idsIfLi32ELi3ELi3EEvPKT_PKfPKiS6_S6_Pfiiiiiiiiiiiiii15HIP_vector_typeIjLj3EES9_,comdat
	.globl	_ZL13mul_mat_f_idsIfLi32ELi3ELi3EEvPKT_PKfPKiS6_S6_Pfiiiiiiiiiiiiii15HIP_vector_typeIjLj3EES9_ ; -- Begin function _ZL13mul_mat_f_idsIfLi32ELi3ELi3EEvPKT_PKfPKiS6_S6_Pfiiiiiiiiiiiiii15HIP_vector_typeIjLj3EES9_
	.p2align	8
	.type	_ZL13mul_mat_f_idsIfLi32ELi3ELi3EEvPKT_PKfPKiS6_S6_Pfiiiiiiiiiiiiii15HIP_vector_typeIjLj3EES9_,@function
_ZL13mul_mat_f_idsIfLi32ELi3ELi3EEvPKT_PKfPKiS6_S6_Pfiiiiiiiiiiiiii15HIP_vector_typeIjLj3EES9_: ; @_ZL13mul_mat_f_idsIfLi32ELi3ELi3EEvPKT_PKfPKiS6_S6_Pfiiiiiiiiiiiiii15HIP_vector_typeIjLj3EES9_
; %bb.0:
	s_add_u32 s0, s0, s7
	s_addc_u32 s1, s1, 0
	s_add_u32 s8, s4, 0x80
	s_addc_u32 s9, s5, 0
	s_getpc_b64 s[4:5]
	s_add_u32 s4, s4, __FUNCTION__._ZL13mul_mat_f_idsIfLi32ELi3ELi1EEvPKT_PKfPKiS6_S6_Pfiiiiiiiiiiiiii15HIP_vector_typeIjLj3EES9_@rel32@lo+4
	s_addc_u32 s5, s5, __FUNCTION__._ZL13mul_mat_f_idsIfLi32ELi3ELi1EEvPKT_PKfPKiS6_S6_Pfiiiiiiiiiiiiii15HIP_vector_typeIjLj3EES9_@rel32@hi+12
	s_getpc_b64 s[6:7]
	s_add_u32 s6, s6, _ZL14no_device_codePKciS0_iS0_@rel32@lo+4
	s_addc_u32 s7, s7, _ZL14no_device_codePKciS0_iS0_@rel32@hi+12
	v_mov_b32_e32 v0, 0x238
	v_mov_b32_e32 v1, s4
	;; [unrolled: 1-line block ×3, first 2 shown]
	s_mov_b32 s32, 0
	s_swappc_b64 s[30:31], s[6:7]
	.section	.rodata,"a",@progbits
	.p2align	6, 0x0
	.amdhsa_kernel _ZL13mul_mat_f_idsIfLi32ELi3ELi3EEvPKT_PKfPKiS6_S6_Pfiiiiiiiiiiiiii15HIP_vector_typeIjLj3EES9_
		.amdhsa_group_segment_fixed_size 0
		.amdhsa_private_segment_fixed_size 16
		.amdhsa_kernarg_size 384
		.amdhsa_user_sgpr_count 6
		.amdhsa_user_sgpr_private_segment_buffer 1
		.amdhsa_user_sgpr_dispatch_ptr 0
		.amdhsa_user_sgpr_queue_ptr 0
		.amdhsa_user_sgpr_kernarg_segment_ptr 1
		.amdhsa_user_sgpr_dispatch_id 0
		.amdhsa_user_sgpr_flat_scratch_init 0
		.amdhsa_user_sgpr_private_segment_size 0
		.amdhsa_uses_dynamic_stack 0
		.amdhsa_system_sgpr_private_segment_wavefront_offset 1
		.amdhsa_system_sgpr_workgroup_id_x 1
		.amdhsa_system_sgpr_workgroup_id_y 0
		.amdhsa_system_sgpr_workgroup_id_z 0
		.amdhsa_system_sgpr_workgroup_info 0
		.amdhsa_system_vgpr_workitem_id 0
		.amdhsa_next_free_vgpr 38
		.amdhsa_next_free_sgpr 34
		.amdhsa_reserve_vcc 1
		.amdhsa_reserve_flat_scratch 0
		.amdhsa_float_round_mode_32 0
		.amdhsa_float_round_mode_16_64 0
		.amdhsa_float_denorm_mode_32 3
		.amdhsa_float_denorm_mode_16_64 3
		.amdhsa_dx10_clamp 1
		.amdhsa_ieee_mode 1
		.amdhsa_fp16_overflow 0
		.amdhsa_exception_fp_ieee_invalid_op 0
		.amdhsa_exception_fp_denorm_src 0
		.amdhsa_exception_fp_ieee_div_zero 0
		.amdhsa_exception_fp_ieee_overflow 0
		.amdhsa_exception_fp_ieee_underflow 0
		.amdhsa_exception_fp_ieee_inexact 0
		.amdhsa_exception_int_div_zero 0
	.end_amdhsa_kernel
	.section	.text._ZL13mul_mat_f_idsIfLi32ELi3ELi3EEvPKT_PKfPKiS6_S6_Pfiiiiiiiiiiiiii15HIP_vector_typeIjLj3EES9_,"axG",@progbits,_ZL13mul_mat_f_idsIfLi32ELi3ELi3EEvPKT_PKfPKiS6_S6_Pfiiiiiiiiiiiiii15HIP_vector_typeIjLj3EES9_,comdat
.Lfunc_end9:
	.size	_ZL13mul_mat_f_idsIfLi32ELi3ELi3EEvPKT_PKfPKiS6_S6_Pfiiiiiiiiiiiiii15HIP_vector_typeIjLj3EES9_, .Lfunc_end9-_ZL13mul_mat_f_idsIfLi32ELi3ELi3EEvPKT_PKfPKiS6_S6_Pfiiiiiiiiiiiiii15HIP_vector_typeIjLj3EES9_
                                        ; -- End function
	.set _ZL13mul_mat_f_idsIfLi32ELi3ELi3EEvPKT_PKfPKiS6_S6_Pfiiiiiiiiiiiiii15HIP_vector_typeIjLj3EES9_.num_vgpr, max(3, .L_ZL14no_device_codePKciS0_iS0_.num_vgpr)
	.set _ZL13mul_mat_f_idsIfLi32ELi3ELi3EEvPKT_PKfPKiS6_S6_Pfiiiiiiiiiiiiii15HIP_vector_typeIjLj3EES9_.num_agpr, max(0, .L_ZL14no_device_codePKciS0_iS0_.num_agpr)
	.set _ZL13mul_mat_f_idsIfLi32ELi3ELi3EEvPKT_PKfPKiS6_S6_Pfiiiiiiiiiiiiii15HIP_vector_typeIjLj3EES9_.numbered_sgpr, max(33, .L_ZL14no_device_codePKciS0_iS0_.numbered_sgpr)
	.set _ZL13mul_mat_f_idsIfLi32ELi3ELi3EEvPKT_PKfPKiS6_S6_Pfiiiiiiiiiiiiii15HIP_vector_typeIjLj3EES9_.num_named_barrier, max(0, .L_ZL14no_device_codePKciS0_iS0_.num_named_barrier)
	.set _ZL13mul_mat_f_idsIfLi32ELi3ELi3EEvPKT_PKfPKiS6_S6_Pfiiiiiiiiiiiiii15HIP_vector_typeIjLj3EES9_.private_seg_size, 0+max(.L_ZL14no_device_codePKciS0_iS0_.private_seg_size)
	.set _ZL13mul_mat_f_idsIfLi32ELi3ELi3EEvPKT_PKfPKiS6_S6_Pfiiiiiiiiiiiiii15HIP_vector_typeIjLj3EES9_.uses_vcc, or(1, .L_ZL14no_device_codePKciS0_iS0_.uses_vcc)
	.set _ZL13mul_mat_f_idsIfLi32ELi3ELi3EEvPKT_PKfPKiS6_S6_Pfiiiiiiiiiiiiii15HIP_vector_typeIjLj3EES9_.uses_flat_scratch, or(0, .L_ZL14no_device_codePKciS0_iS0_.uses_flat_scratch)
	.set _ZL13mul_mat_f_idsIfLi32ELi3ELi3EEvPKT_PKfPKiS6_S6_Pfiiiiiiiiiiiiii15HIP_vector_typeIjLj3EES9_.has_dyn_sized_stack, or(0, .L_ZL14no_device_codePKciS0_iS0_.has_dyn_sized_stack)
	.set _ZL13mul_mat_f_idsIfLi32ELi3ELi3EEvPKT_PKfPKiS6_S6_Pfiiiiiiiiiiiiii15HIP_vector_typeIjLj3EES9_.has_recursion, or(0, .L_ZL14no_device_codePKciS0_iS0_.has_recursion)
	.set _ZL13mul_mat_f_idsIfLi32ELi3ELi3EEvPKT_PKfPKiS6_S6_Pfiiiiiiiiiiiiii15HIP_vector_typeIjLj3EES9_.has_indirect_call, or(0, .L_ZL14no_device_codePKciS0_iS0_.has_indirect_call)
	.section	.AMDGPU.csdata,"",@progbits
; Kernel info:
; codeLenInByte = 84
; TotalNumSgprs: 38
; NumVgprs: 38
; ScratchSize: 16
; MemoryBound: 0
; FloatMode: 240
; IeeeMode: 1
; LDSByteSize: 0 bytes/workgroup (compile time only)
; SGPRBlocks: 4
; VGPRBlocks: 9
; NumSGPRsForWavesPerEU: 38
; NumVGPRsForWavesPerEU: 38
; Occupancy: 6
; WaveLimiterHint : 1
; COMPUTE_PGM_RSRC2:SCRATCH_EN: 1
; COMPUTE_PGM_RSRC2:USER_SGPR: 6
; COMPUTE_PGM_RSRC2:TRAP_HANDLER: 0
; COMPUTE_PGM_RSRC2:TGID_X_EN: 1
; COMPUTE_PGM_RSRC2:TGID_Y_EN: 0
; COMPUTE_PGM_RSRC2:TGID_Z_EN: 0
; COMPUTE_PGM_RSRC2:TIDIG_COMP_CNT: 0
	.section	.text._ZL9mul_mat_fIfLi32ELi3ELi3ELb1EEvPKT_PKfPKiPfiiiiiiiiiiiiiiii,"axG",@progbits,_ZL9mul_mat_fIfLi32ELi3ELi3ELb1EEvPKT_PKfPKiPfiiiiiiiiiiiiiiii,comdat
	.globl	_ZL9mul_mat_fIfLi32ELi3ELi3ELb1EEvPKT_PKfPKiPfiiiiiiiiiiiiiiii ; -- Begin function _ZL9mul_mat_fIfLi32ELi3ELi3ELb1EEvPKT_PKfPKiPfiiiiiiiiiiiiiiii
	.p2align	8
	.type	_ZL9mul_mat_fIfLi32ELi3ELi3ELb1EEvPKT_PKfPKiPfiiiiiiiiiiiiiiii,@function
_ZL9mul_mat_fIfLi32ELi3ELi3ELb1EEvPKT_PKfPKiPfiiiiiiiiiiiiiiii: ; @_ZL9mul_mat_fIfLi32ELi3ELi3ELb1EEvPKT_PKfPKiPfiiiiiiiiiiiiiiii
; %bb.0:
	s_add_u32 s0, s0, s7
	s_addc_u32 s1, s1, 0
	s_add_u32 s8, s4, 0x60
	s_addc_u32 s9, s5, 0
	s_getpc_b64 s[4:5]
	s_add_u32 s4, s4, __FUNCTION__._ZL9mul_mat_fIfLi32ELi3ELi1ELb1EEvPKT_PKfPKiPfiiiiiiiiiiiiiiii@rel32@lo+4
	s_addc_u32 s5, s5, __FUNCTION__._ZL9mul_mat_fIfLi32ELi3ELi1ELb1EEvPKT_PKfPKiPfiiiiiiiiiiiiiiii@rel32@hi+12
	s_getpc_b64 s[6:7]
	s_add_u32 s6, s6, _ZL14no_device_codePKciS0_iS0_@rel32@lo+4
	s_addc_u32 s7, s7, _ZL14no_device_codePKciS0_iS0_@rel32@hi+12
	v_mov_b32_e32 v0, 0x124
	v_mov_b32_e32 v1, s4
	;; [unrolled: 1-line block ×3, first 2 shown]
	s_mov_b32 s32, 0
	s_swappc_b64 s[30:31], s[6:7]
	.section	.rodata,"a",@progbits
	.p2align	6, 0x0
	.amdhsa_kernel _ZL9mul_mat_fIfLi32ELi3ELi3ELb1EEvPKT_PKfPKiPfiiiiiiiiiiiiiiii
		.amdhsa_group_segment_fixed_size 0
		.amdhsa_private_segment_fixed_size 16
		.amdhsa_kernarg_size 352
		.amdhsa_user_sgpr_count 6
		.amdhsa_user_sgpr_private_segment_buffer 1
		.amdhsa_user_sgpr_dispatch_ptr 0
		.amdhsa_user_sgpr_queue_ptr 0
		.amdhsa_user_sgpr_kernarg_segment_ptr 1
		.amdhsa_user_sgpr_dispatch_id 0
		.amdhsa_user_sgpr_flat_scratch_init 0
		.amdhsa_user_sgpr_private_segment_size 0
		.amdhsa_uses_dynamic_stack 0
		.amdhsa_system_sgpr_private_segment_wavefront_offset 1
		.amdhsa_system_sgpr_workgroup_id_x 1
		.amdhsa_system_sgpr_workgroup_id_y 0
		.amdhsa_system_sgpr_workgroup_id_z 0
		.amdhsa_system_sgpr_workgroup_info 0
		.amdhsa_system_vgpr_workitem_id 0
		.amdhsa_next_free_vgpr 38
		.amdhsa_next_free_sgpr 34
		.amdhsa_reserve_vcc 1
		.amdhsa_reserve_flat_scratch 0
		.amdhsa_float_round_mode_32 0
		.amdhsa_float_round_mode_16_64 0
		.amdhsa_float_denorm_mode_32 3
		.amdhsa_float_denorm_mode_16_64 3
		.amdhsa_dx10_clamp 1
		.amdhsa_ieee_mode 1
		.amdhsa_fp16_overflow 0
		.amdhsa_exception_fp_ieee_invalid_op 0
		.amdhsa_exception_fp_denorm_src 0
		.amdhsa_exception_fp_ieee_div_zero 0
		.amdhsa_exception_fp_ieee_overflow 0
		.amdhsa_exception_fp_ieee_underflow 0
		.amdhsa_exception_fp_ieee_inexact 0
		.amdhsa_exception_int_div_zero 0
	.end_amdhsa_kernel
	.section	.text._ZL9mul_mat_fIfLi32ELi3ELi3ELb1EEvPKT_PKfPKiPfiiiiiiiiiiiiiiii,"axG",@progbits,_ZL9mul_mat_fIfLi32ELi3ELi3ELb1EEvPKT_PKfPKiPfiiiiiiiiiiiiiiii,comdat
.Lfunc_end10:
	.size	_ZL9mul_mat_fIfLi32ELi3ELi3ELb1EEvPKT_PKfPKiPfiiiiiiiiiiiiiiii, .Lfunc_end10-_ZL9mul_mat_fIfLi32ELi3ELi3ELb1EEvPKT_PKfPKiPfiiiiiiiiiiiiiiii
                                        ; -- End function
	.set _ZL9mul_mat_fIfLi32ELi3ELi3ELb1EEvPKT_PKfPKiPfiiiiiiiiiiiiiiii.num_vgpr, max(3, .L_ZL14no_device_codePKciS0_iS0_.num_vgpr)
	.set _ZL9mul_mat_fIfLi32ELi3ELi3ELb1EEvPKT_PKfPKiPfiiiiiiiiiiiiiiii.num_agpr, max(0, .L_ZL14no_device_codePKciS0_iS0_.num_agpr)
	.set _ZL9mul_mat_fIfLi32ELi3ELi3ELb1EEvPKT_PKfPKiPfiiiiiiiiiiiiiiii.numbered_sgpr, max(33, .L_ZL14no_device_codePKciS0_iS0_.numbered_sgpr)
	.set _ZL9mul_mat_fIfLi32ELi3ELi3ELb1EEvPKT_PKfPKiPfiiiiiiiiiiiiiiii.num_named_barrier, max(0, .L_ZL14no_device_codePKciS0_iS0_.num_named_barrier)
	.set _ZL9mul_mat_fIfLi32ELi3ELi3ELb1EEvPKT_PKfPKiPfiiiiiiiiiiiiiiii.private_seg_size, 0+max(.L_ZL14no_device_codePKciS0_iS0_.private_seg_size)
	.set _ZL9mul_mat_fIfLi32ELi3ELi3ELb1EEvPKT_PKfPKiPfiiiiiiiiiiiiiiii.uses_vcc, or(1, .L_ZL14no_device_codePKciS0_iS0_.uses_vcc)
	.set _ZL9mul_mat_fIfLi32ELi3ELi3ELb1EEvPKT_PKfPKiPfiiiiiiiiiiiiiiii.uses_flat_scratch, or(0, .L_ZL14no_device_codePKciS0_iS0_.uses_flat_scratch)
	.set _ZL9mul_mat_fIfLi32ELi3ELi3ELb1EEvPKT_PKfPKiPfiiiiiiiiiiiiiiii.has_dyn_sized_stack, or(0, .L_ZL14no_device_codePKciS0_iS0_.has_dyn_sized_stack)
	.set _ZL9mul_mat_fIfLi32ELi3ELi3ELb1EEvPKT_PKfPKiPfiiiiiiiiiiiiiiii.has_recursion, or(0, .L_ZL14no_device_codePKciS0_iS0_.has_recursion)
	.set _ZL9mul_mat_fIfLi32ELi3ELi3ELb1EEvPKT_PKfPKiPfiiiiiiiiiiiiiiii.has_indirect_call, or(0, .L_ZL14no_device_codePKciS0_iS0_.has_indirect_call)
	.section	.AMDGPU.csdata,"",@progbits
; Kernel info:
; codeLenInByte = 84
; TotalNumSgprs: 38
; NumVgprs: 38
; ScratchSize: 16
; MemoryBound: 0
; FloatMode: 240
; IeeeMode: 1
; LDSByteSize: 0 bytes/workgroup (compile time only)
; SGPRBlocks: 4
; VGPRBlocks: 9
; NumSGPRsForWavesPerEU: 38
; NumVGPRsForWavesPerEU: 38
; Occupancy: 6
; WaveLimiterHint : 1
; COMPUTE_PGM_RSRC2:SCRATCH_EN: 1
; COMPUTE_PGM_RSRC2:USER_SGPR: 6
; COMPUTE_PGM_RSRC2:TRAP_HANDLER: 0
; COMPUTE_PGM_RSRC2:TGID_X_EN: 1
; COMPUTE_PGM_RSRC2:TGID_Y_EN: 0
; COMPUTE_PGM_RSRC2:TGID_Z_EN: 0
; COMPUTE_PGM_RSRC2:TIDIG_COMP_CNT: 0
	.section	.text._ZL9mul_mat_fIfLi32ELi3ELi3ELb0EEvPKT_PKfPKiPfiiiiiiiiiiiiiiii,"axG",@progbits,_ZL9mul_mat_fIfLi32ELi3ELi3ELb0EEvPKT_PKfPKiPfiiiiiiiiiiiiiiii,comdat
	.globl	_ZL9mul_mat_fIfLi32ELi3ELi3ELb0EEvPKT_PKfPKiPfiiiiiiiiiiiiiiii ; -- Begin function _ZL9mul_mat_fIfLi32ELi3ELi3ELb0EEvPKT_PKfPKiPfiiiiiiiiiiiiiiii
	.p2align	8
	.type	_ZL9mul_mat_fIfLi32ELi3ELi3ELb0EEvPKT_PKfPKiPfiiiiiiiiiiiiiiii,@function
_ZL9mul_mat_fIfLi32ELi3ELi3ELb0EEvPKT_PKfPKiPfiiiiiiiiiiiiiiii: ; @_ZL9mul_mat_fIfLi32ELi3ELi3ELb0EEvPKT_PKfPKiPfiiiiiiiiiiiiiiii
; %bb.0:
	s_add_u32 s0, s0, s7
	s_addc_u32 s1, s1, 0
	s_add_u32 s8, s4, 0x60
	s_addc_u32 s9, s5, 0
	s_getpc_b64 s[4:5]
	s_add_u32 s4, s4, __FUNCTION__._ZL9mul_mat_fIfLi32ELi3ELi1ELb1EEvPKT_PKfPKiPfiiiiiiiiiiiiiiii@rel32@lo+4
	s_addc_u32 s5, s5, __FUNCTION__._ZL9mul_mat_fIfLi32ELi3ELi1ELb1EEvPKT_PKfPKiPfiiiiiiiiiiiiiiii@rel32@hi+12
	s_getpc_b64 s[6:7]
	s_add_u32 s6, s6, _ZL14no_device_codePKciS0_iS0_@rel32@lo+4
	s_addc_u32 s7, s7, _ZL14no_device_codePKciS0_iS0_@rel32@hi+12
	v_mov_b32_e32 v0, 0x124
	v_mov_b32_e32 v1, s4
	;; [unrolled: 1-line block ×3, first 2 shown]
	s_mov_b32 s32, 0
	s_swappc_b64 s[30:31], s[6:7]
	.section	.rodata,"a",@progbits
	.p2align	6, 0x0
	.amdhsa_kernel _ZL9mul_mat_fIfLi32ELi3ELi3ELb0EEvPKT_PKfPKiPfiiiiiiiiiiiiiiii
		.amdhsa_group_segment_fixed_size 0
		.amdhsa_private_segment_fixed_size 16
		.amdhsa_kernarg_size 352
		.amdhsa_user_sgpr_count 6
		.amdhsa_user_sgpr_private_segment_buffer 1
		.amdhsa_user_sgpr_dispatch_ptr 0
		.amdhsa_user_sgpr_queue_ptr 0
		.amdhsa_user_sgpr_kernarg_segment_ptr 1
		.amdhsa_user_sgpr_dispatch_id 0
		.amdhsa_user_sgpr_flat_scratch_init 0
		.amdhsa_user_sgpr_private_segment_size 0
		.amdhsa_uses_dynamic_stack 0
		.amdhsa_system_sgpr_private_segment_wavefront_offset 1
		.amdhsa_system_sgpr_workgroup_id_x 1
		.amdhsa_system_sgpr_workgroup_id_y 0
		.amdhsa_system_sgpr_workgroup_id_z 0
		.amdhsa_system_sgpr_workgroup_info 0
		.amdhsa_system_vgpr_workitem_id 0
		.amdhsa_next_free_vgpr 38
		.amdhsa_next_free_sgpr 34
		.amdhsa_reserve_vcc 1
		.amdhsa_reserve_flat_scratch 0
		.amdhsa_float_round_mode_32 0
		.amdhsa_float_round_mode_16_64 0
		.amdhsa_float_denorm_mode_32 3
		.amdhsa_float_denorm_mode_16_64 3
		.amdhsa_dx10_clamp 1
		.amdhsa_ieee_mode 1
		.amdhsa_fp16_overflow 0
		.amdhsa_exception_fp_ieee_invalid_op 0
		.amdhsa_exception_fp_denorm_src 0
		.amdhsa_exception_fp_ieee_div_zero 0
		.amdhsa_exception_fp_ieee_overflow 0
		.amdhsa_exception_fp_ieee_underflow 0
		.amdhsa_exception_fp_ieee_inexact 0
		.amdhsa_exception_int_div_zero 0
	.end_amdhsa_kernel
	.section	.text._ZL9mul_mat_fIfLi32ELi3ELi3ELb0EEvPKT_PKfPKiPfiiiiiiiiiiiiiiii,"axG",@progbits,_ZL9mul_mat_fIfLi32ELi3ELi3ELb0EEvPKT_PKfPKiPfiiiiiiiiiiiiiiii,comdat
.Lfunc_end11:
	.size	_ZL9mul_mat_fIfLi32ELi3ELi3ELb0EEvPKT_PKfPKiPfiiiiiiiiiiiiiiii, .Lfunc_end11-_ZL9mul_mat_fIfLi32ELi3ELi3ELb0EEvPKT_PKfPKiPfiiiiiiiiiiiiiiii
                                        ; -- End function
	.set _ZL9mul_mat_fIfLi32ELi3ELi3ELb0EEvPKT_PKfPKiPfiiiiiiiiiiiiiiii.num_vgpr, max(3, .L_ZL14no_device_codePKciS0_iS0_.num_vgpr)
	.set _ZL9mul_mat_fIfLi32ELi3ELi3ELb0EEvPKT_PKfPKiPfiiiiiiiiiiiiiiii.num_agpr, max(0, .L_ZL14no_device_codePKciS0_iS0_.num_agpr)
	.set _ZL9mul_mat_fIfLi32ELi3ELi3ELb0EEvPKT_PKfPKiPfiiiiiiiiiiiiiiii.numbered_sgpr, max(33, .L_ZL14no_device_codePKciS0_iS0_.numbered_sgpr)
	.set _ZL9mul_mat_fIfLi32ELi3ELi3ELb0EEvPKT_PKfPKiPfiiiiiiiiiiiiiiii.num_named_barrier, max(0, .L_ZL14no_device_codePKciS0_iS0_.num_named_barrier)
	.set _ZL9mul_mat_fIfLi32ELi3ELi3ELb0EEvPKT_PKfPKiPfiiiiiiiiiiiiiiii.private_seg_size, 0+max(.L_ZL14no_device_codePKciS0_iS0_.private_seg_size)
	.set _ZL9mul_mat_fIfLi32ELi3ELi3ELb0EEvPKT_PKfPKiPfiiiiiiiiiiiiiiii.uses_vcc, or(1, .L_ZL14no_device_codePKciS0_iS0_.uses_vcc)
	.set _ZL9mul_mat_fIfLi32ELi3ELi3ELb0EEvPKT_PKfPKiPfiiiiiiiiiiiiiiii.uses_flat_scratch, or(0, .L_ZL14no_device_codePKciS0_iS0_.uses_flat_scratch)
	.set _ZL9mul_mat_fIfLi32ELi3ELi3ELb0EEvPKT_PKfPKiPfiiiiiiiiiiiiiiii.has_dyn_sized_stack, or(0, .L_ZL14no_device_codePKciS0_iS0_.has_dyn_sized_stack)
	.set _ZL9mul_mat_fIfLi32ELi3ELi3ELb0EEvPKT_PKfPKiPfiiiiiiiiiiiiiiii.has_recursion, or(0, .L_ZL14no_device_codePKciS0_iS0_.has_recursion)
	.set _ZL9mul_mat_fIfLi32ELi3ELi3ELb0EEvPKT_PKfPKiPfiiiiiiiiiiiiiiii.has_indirect_call, or(0, .L_ZL14no_device_codePKciS0_iS0_.has_indirect_call)
	.section	.AMDGPU.csdata,"",@progbits
; Kernel info:
; codeLenInByte = 84
; TotalNumSgprs: 38
; NumVgprs: 38
; ScratchSize: 16
; MemoryBound: 0
; FloatMode: 240
; IeeeMode: 1
; LDSByteSize: 0 bytes/workgroup (compile time only)
; SGPRBlocks: 4
; VGPRBlocks: 9
; NumSGPRsForWavesPerEU: 38
; NumVGPRsForWavesPerEU: 38
; Occupancy: 6
; WaveLimiterHint : 1
; COMPUTE_PGM_RSRC2:SCRATCH_EN: 1
; COMPUTE_PGM_RSRC2:USER_SGPR: 6
; COMPUTE_PGM_RSRC2:TRAP_HANDLER: 0
; COMPUTE_PGM_RSRC2:TGID_X_EN: 1
; COMPUTE_PGM_RSRC2:TGID_Y_EN: 0
; COMPUTE_PGM_RSRC2:TGID_Z_EN: 0
; COMPUTE_PGM_RSRC2:TIDIG_COMP_CNT: 0
	.section	.text._ZL13mul_mat_f_idsIfLi32ELi3ELi4EEvPKT_PKfPKiS6_S6_Pfiiiiiiiiiiiiii15HIP_vector_typeIjLj3EES9_,"axG",@progbits,_ZL13mul_mat_f_idsIfLi32ELi3ELi4EEvPKT_PKfPKiS6_S6_Pfiiiiiiiiiiiiii15HIP_vector_typeIjLj3EES9_,comdat
	.globl	_ZL13mul_mat_f_idsIfLi32ELi3ELi4EEvPKT_PKfPKiS6_S6_Pfiiiiiiiiiiiiii15HIP_vector_typeIjLj3EES9_ ; -- Begin function _ZL13mul_mat_f_idsIfLi32ELi3ELi4EEvPKT_PKfPKiS6_S6_Pfiiiiiiiiiiiiii15HIP_vector_typeIjLj3EES9_
	.p2align	8
	.type	_ZL13mul_mat_f_idsIfLi32ELi3ELi4EEvPKT_PKfPKiS6_S6_Pfiiiiiiiiiiiiii15HIP_vector_typeIjLj3EES9_,@function
_ZL13mul_mat_f_idsIfLi32ELi3ELi4EEvPKT_PKfPKiS6_S6_Pfiiiiiiiiiiiiii15HIP_vector_typeIjLj3EES9_: ; @_ZL13mul_mat_f_idsIfLi32ELi3ELi4EEvPKT_PKfPKiS6_S6_Pfiiiiiiiiiiiiii15HIP_vector_typeIjLj3EES9_
; %bb.0:
	s_add_u32 s0, s0, s7
	s_addc_u32 s1, s1, 0
	s_add_u32 s8, s4, 0x80
	s_addc_u32 s9, s5, 0
	s_getpc_b64 s[4:5]
	s_add_u32 s4, s4, __FUNCTION__._ZL13mul_mat_f_idsIfLi32ELi3ELi1EEvPKT_PKfPKiS6_S6_Pfiiiiiiiiiiiiii15HIP_vector_typeIjLj3EES9_@rel32@lo+4
	s_addc_u32 s5, s5, __FUNCTION__._ZL13mul_mat_f_idsIfLi32ELi3ELi1EEvPKT_PKfPKiS6_S6_Pfiiiiiiiiiiiiii15HIP_vector_typeIjLj3EES9_@rel32@hi+12
	s_getpc_b64 s[6:7]
	s_add_u32 s6, s6, _ZL14no_device_codePKciS0_iS0_@rel32@lo+4
	s_addc_u32 s7, s7, _ZL14no_device_codePKciS0_iS0_@rel32@hi+12
	v_mov_b32_e32 v0, 0x238
	v_mov_b32_e32 v1, s4
	;; [unrolled: 1-line block ×3, first 2 shown]
	s_mov_b32 s32, 0
	s_swappc_b64 s[30:31], s[6:7]
	.section	.rodata,"a",@progbits
	.p2align	6, 0x0
	.amdhsa_kernel _ZL13mul_mat_f_idsIfLi32ELi3ELi4EEvPKT_PKfPKiS6_S6_Pfiiiiiiiiiiiiii15HIP_vector_typeIjLj3EES9_
		.amdhsa_group_segment_fixed_size 0
		.amdhsa_private_segment_fixed_size 16
		.amdhsa_kernarg_size 384
		.amdhsa_user_sgpr_count 6
		.amdhsa_user_sgpr_private_segment_buffer 1
		.amdhsa_user_sgpr_dispatch_ptr 0
		.amdhsa_user_sgpr_queue_ptr 0
		.amdhsa_user_sgpr_kernarg_segment_ptr 1
		.amdhsa_user_sgpr_dispatch_id 0
		.amdhsa_user_sgpr_flat_scratch_init 0
		.amdhsa_user_sgpr_private_segment_size 0
		.amdhsa_uses_dynamic_stack 0
		.amdhsa_system_sgpr_private_segment_wavefront_offset 1
		.amdhsa_system_sgpr_workgroup_id_x 1
		.amdhsa_system_sgpr_workgroup_id_y 0
		.amdhsa_system_sgpr_workgroup_id_z 0
		.amdhsa_system_sgpr_workgroup_info 0
		.amdhsa_system_vgpr_workitem_id 0
		.amdhsa_next_free_vgpr 38
		.amdhsa_next_free_sgpr 34
		.amdhsa_reserve_vcc 1
		.amdhsa_reserve_flat_scratch 0
		.amdhsa_float_round_mode_32 0
		.amdhsa_float_round_mode_16_64 0
		.amdhsa_float_denorm_mode_32 3
		.amdhsa_float_denorm_mode_16_64 3
		.amdhsa_dx10_clamp 1
		.amdhsa_ieee_mode 1
		.amdhsa_fp16_overflow 0
		.amdhsa_exception_fp_ieee_invalid_op 0
		.amdhsa_exception_fp_denorm_src 0
		.amdhsa_exception_fp_ieee_div_zero 0
		.amdhsa_exception_fp_ieee_overflow 0
		.amdhsa_exception_fp_ieee_underflow 0
		.amdhsa_exception_fp_ieee_inexact 0
		.amdhsa_exception_int_div_zero 0
	.end_amdhsa_kernel
	.section	.text._ZL13mul_mat_f_idsIfLi32ELi3ELi4EEvPKT_PKfPKiS6_S6_Pfiiiiiiiiiiiiii15HIP_vector_typeIjLj3EES9_,"axG",@progbits,_ZL13mul_mat_f_idsIfLi32ELi3ELi4EEvPKT_PKfPKiS6_S6_Pfiiiiiiiiiiiiii15HIP_vector_typeIjLj3EES9_,comdat
.Lfunc_end12:
	.size	_ZL13mul_mat_f_idsIfLi32ELi3ELi4EEvPKT_PKfPKiS6_S6_Pfiiiiiiiiiiiiii15HIP_vector_typeIjLj3EES9_, .Lfunc_end12-_ZL13mul_mat_f_idsIfLi32ELi3ELi4EEvPKT_PKfPKiS6_S6_Pfiiiiiiiiiiiiii15HIP_vector_typeIjLj3EES9_
                                        ; -- End function
	.set _ZL13mul_mat_f_idsIfLi32ELi3ELi4EEvPKT_PKfPKiS6_S6_Pfiiiiiiiiiiiiii15HIP_vector_typeIjLj3EES9_.num_vgpr, max(3, .L_ZL14no_device_codePKciS0_iS0_.num_vgpr)
	.set _ZL13mul_mat_f_idsIfLi32ELi3ELi4EEvPKT_PKfPKiS6_S6_Pfiiiiiiiiiiiiii15HIP_vector_typeIjLj3EES9_.num_agpr, max(0, .L_ZL14no_device_codePKciS0_iS0_.num_agpr)
	.set _ZL13mul_mat_f_idsIfLi32ELi3ELi4EEvPKT_PKfPKiS6_S6_Pfiiiiiiiiiiiiii15HIP_vector_typeIjLj3EES9_.numbered_sgpr, max(33, .L_ZL14no_device_codePKciS0_iS0_.numbered_sgpr)
	.set _ZL13mul_mat_f_idsIfLi32ELi3ELi4EEvPKT_PKfPKiS6_S6_Pfiiiiiiiiiiiiii15HIP_vector_typeIjLj3EES9_.num_named_barrier, max(0, .L_ZL14no_device_codePKciS0_iS0_.num_named_barrier)
	.set _ZL13mul_mat_f_idsIfLi32ELi3ELi4EEvPKT_PKfPKiS6_S6_Pfiiiiiiiiiiiiii15HIP_vector_typeIjLj3EES9_.private_seg_size, 0+max(.L_ZL14no_device_codePKciS0_iS0_.private_seg_size)
	.set _ZL13mul_mat_f_idsIfLi32ELi3ELi4EEvPKT_PKfPKiS6_S6_Pfiiiiiiiiiiiiii15HIP_vector_typeIjLj3EES9_.uses_vcc, or(1, .L_ZL14no_device_codePKciS0_iS0_.uses_vcc)
	.set _ZL13mul_mat_f_idsIfLi32ELi3ELi4EEvPKT_PKfPKiS6_S6_Pfiiiiiiiiiiiiii15HIP_vector_typeIjLj3EES9_.uses_flat_scratch, or(0, .L_ZL14no_device_codePKciS0_iS0_.uses_flat_scratch)
	.set _ZL13mul_mat_f_idsIfLi32ELi3ELi4EEvPKT_PKfPKiS6_S6_Pfiiiiiiiiiiiiii15HIP_vector_typeIjLj3EES9_.has_dyn_sized_stack, or(0, .L_ZL14no_device_codePKciS0_iS0_.has_dyn_sized_stack)
	.set _ZL13mul_mat_f_idsIfLi32ELi3ELi4EEvPKT_PKfPKiS6_S6_Pfiiiiiiiiiiiiii15HIP_vector_typeIjLj3EES9_.has_recursion, or(0, .L_ZL14no_device_codePKciS0_iS0_.has_recursion)
	.set _ZL13mul_mat_f_idsIfLi32ELi3ELi4EEvPKT_PKfPKiS6_S6_Pfiiiiiiiiiiiiii15HIP_vector_typeIjLj3EES9_.has_indirect_call, or(0, .L_ZL14no_device_codePKciS0_iS0_.has_indirect_call)
	.section	.AMDGPU.csdata,"",@progbits
; Kernel info:
; codeLenInByte = 84
; TotalNumSgprs: 38
; NumVgprs: 38
; ScratchSize: 16
; MemoryBound: 0
; FloatMode: 240
; IeeeMode: 1
; LDSByteSize: 0 bytes/workgroup (compile time only)
; SGPRBlocks: 4
; VGPRBlocks: 9
; NumSGPRsForWavesPerEU: 38
; NumVGPRsForWavesPerEU: 38
; Occupancy: 6
; WaveLimiterHint : 1
; COMPUTE_PGM_RSRC2:SCRATCH_EN: 1
; COMPUTE_PGM_RSRC2:USER_SGPR: 6
; COMPUTE_PGM_RSRC2:TRAP_HANDLER: 0
; COMPUTE_PGM_RSRC2:TGID_X_EN: 1
; COMPUTE_PGM_RSRC2:TGID_Y_EN: 0
; COMPUTE_PGM_RSRC2:TGID_Z_EN: 0
; COMPUTE_PGM_RSRC2:TIDIG_COMP_CNT: 0
	.section	.text._ZL9mul_mat_fIfLi32ELi3ELi4ELb1EEvPKT_PKfPKiPfiiiiiiiiiiiiiiii,"axG",@progbits,_ZL9mul_mat_fIfLi32ELi3ELi4ELb1EEvPKT_PKfPKiPfiiiiiiiiiiiiiiii,comdat
	.globl	_ZL9mul_mat_fIfLi32ELi3ELi4ELb1EEvPKT_PKfPKiPfiiiiiiiiiiiiiiii ; -- Begin function _ZL9mul_mat_fIfLi32ELi3ELi4ELb1EEvPKT_PKfPKiPfiiiiiiiiiiiiiiii
	.p2align	8
	.type	_ZL9mul_mat_fIfLi32ELi3ELi4ELb1EEvPKT_PKfPKiPfiiiiiiiiiiiiiiii,@function
_ZL9mul_mat_fIfLi32ELi3ELi4ELb1EEvPKT_PKfPKiPfiiiiiiiiiiiiiiii: ; @_ZL9mul_mat_fIfLi32ELi3ELi4ELb1EEvPKT_PKfPKiPfiiiiiiiiiiiiiiii
; %bb.0:
	s_add_u32 s0, s0, s7
	s_addc_u32 s1, s1, 0
	s_add_u32 s8, s4, 0x60
	s_addc_u32 s9, s5, 0
	s_getpc_b64 s[4:5]
	s_add_u32 s4, s4, __FUNCTION__._ZL9mul_mat_fIfLi32ELi3ELi1ELb1EEvPKT_PKfPKiPfiiiiiiiiiiiiiiii@rel32@lo+4
	s_addc_u32 s5, s5, __FUNCTION__._ZL9mul_mat_fIfLi32ELi3ELi1ELb1EEvPKT_PKfPKiPfiiiiiiiiiiiiiiii@rel32@hi+12
	s_getpc_b64 s[6:7]
	s_add_u32 s6, s6, _ZL14no_device_codePKciS0_iS0_@rel32@lo+4
	s_addc_u32 s7, s7, _ZL14no_device_codePKciS0_iS0_@rel32@hi+12
	v_mov_b32_e32 v0, 0x124
	v_mov_b32_e32 v1, s4
	;; [unrolled: 1-line block ×3, first 2 shown]
	s_mov_b32 s32, 0
	s_swappc_b64 s[30:31], s[6:7]
	.section	.rodata,"a",@progbits
	.p2align	6, 0x0
	.amdhsa_kernel _ZL9mul_mat_fIfLi32ELi3ELi4ELb1EEvPKT_PKfPKiPfiiiiiiiiiiiiiiii
		.amdhsa_group_segment_fixed_size 0
		.amdhsa_private_segment_fixed_size 16
		.amdhsa_kernarg_size 352
		.amdhsa_user_sgpr_count 6
		.amdhsa_user_sgpr_private_segment_buffer 1
		.amdhsa_user_sgpr_dispatch_ptr 0
		.amdhsa_user_sgpr_queue_ptr 0
		.amdhsa_user_sgpr_kernarg_segment_ptr 1
		.amdhsa_user_sgpr_dispatch_id 0
		.amdhsa_user_sgpr_flat_scratch_init 0
		.amdhsa_user_sgpr_private_segment_size 0
		.amdhsa_uses_dynamic_stack 0
		.amdhsa_system_sgpr_private_segment_wavefront_offset 1
		.amdhsa_system_sgpr_workgroup_id_x 1
		.amdhsa_system_sgpr_workgroup_id_y 0
		.amdhsa_system_sgpr_workgroup_id_z 0
		.amdhsa_system_sgpr_workgroup_info 0
		.amdhsa_system_vgpr_workitem_id 0
		.amdhsa_next_free_vgpr 38
		.amdhsa_next_free_sgpr 34
		.amdhsa_reserve_vcc 1
		.amdhsa_reserve_flat_scratch 0
		.amdhsa_float_round_mode_32 0
		.amdhsa_float_round_mode_16_64 0
		.amdhsa_float_denorm_mode_32 3
		.amdhsa_float_denorm_mode_16_64 3
		.amdhsa_dx10_clamp 1
		.amdhsa_ieee_mode 1
		.amdhsa_fp16_overflow 0
		.amdhsa_exception_fp_ieee_invalid_op 0
		.amdhsa_exception_fp_denorm_src 0
		.amdhsa_exception_fp_ieee_div_zero 0
		.amdhsa_exception_fp_ieee_overflow 0
		.amdhsa_exception_fp_ieee_underflow 0
		.amdhsa_exception_fp_ieee_inexact 0
		.amdhsa_exception_int_div_zero 0
	.end_amdhsa_kernel
	.section	.text._ZL9mul_mat_fIfLi32ELi3ELi4ELb1EEvPKT_PKfPKiPfiiiiiiiiiiiiiiii,"axG",@progbits,_ZL9mul_mat_fIfLi32ELi3ELi4ELb1EEvPKT_PKfPKiPfiiiiiiiiiiiiiiii,comdat
.Lfunc_end13:
	.size	_ZL9mul_mat_fIfLi32ELi3ELi4ELb1EEvPKT_PKfPKiPfiiiiiiiiiiiiiiii, .Lfunc_end13-_ZL9mul_mat_fIfLi32ELi3ELi4ELb1EEvPKT_PKfPKiPfiiiiiiiiiiiiiiii
                                        ; -- End function
	.set _ZL9mul_mat_fIfLi32ELi3ELi4ELb1EEvPKT_PKfPKiPfiiiiiiiiiiiiiiii.num_vgpr, max(3, .L_ZL14no_device_codePKciS0_iS0_.num_vgpr)
	.set _ZL9mul_mat_fIfLi32ELi3ELi4ELb1EEvPKT_PKfPKiPfiiiiiiiiiiiiiiii.num_agpr, max(0, .L_ZL14no_device_codePKciS0_iS0_.num_agpr)
	.set _ZL9mul_mat_fIfLi32ELi3ELi4ELb1EEvPKT_PKfPKiPfiiiiiiiiiiiiiiii.numbered_sgpr, max(33, .L_ZL14no_device_codePKciS0_iS0_.numbered_sgpr)
	.set _ZL9mul_mat_fIfLi32ELi3ELi4ELb1EEvPKT_PKfPKiPfiiiiiiiiiiiiiiii.num_named_barrier, max(0, .L_ZL14no_device_codePKciS0_iS0_.num_named_barrier)
	.set _ZL9mul_mat_fIfLi32ELi3ELi4ELb1EEvPKT_PKfPKiPfiiiiiiiiiiiiiiii.private_seg_size, 0+max(.L_ZL14no_device_codePKciS0_iS0_.private_seg_size)
	.set _ZL9mul_mat_fIfLi32ELi3ELi4ELb1EEvPKT_PKfPKiPfiiiiiiiiiiiiiiii.uses_vcc, or(1, .L_ZL14no_device_codePKciS0_iS0_.uses_vcc)
	.set _ZL9mul_mat_fIfLi32ELi3ELi4ELb1EEvPKT_PKfPKiPfiiiiiiiiiiiiiiii.uses_flat_scratch, or(0, .L_ZL14no_device_codePKciS0_iS0_.uses_flat_scratch)
	.set _ZL9mul_mat_fIfLi32ELi3ELi4ELb1EEvPKT_PKfPKiPfiiiiiiiiiiiiiiii.has_dyn_sized_stack, or(0, .L_ZL14no_device_codePKciS0_iS0_.has_dyn_sized_stack)
	.set _ZL9mul_mat_fIfLi32ELi3ELi4ELb1EEvPKT_PKfPKiPfiiiiiiiiiiiiiiii.has_recursion, or(0, .L_ZL14no_device_codePKciS0_iS0_.has_recursion)
	.set _ZL9mul_mat_fIfLi32ELi3ELi4ELb1EEvPKT_PKfPKiPfiiiiiiiiiiiiiiii.has_indirect_call, or(0, .L_ZL14no_device_codePKciS0_iS0_.has_indirect_call)
	.section	.AMDGPU.csdata,"",@progbits
; Kernel info:
; codeLenInByte = 84
; TotalNumSgprs: 38
; NumVgprs: 38
; ScratchSize: 16
; MemoryBound: 0
; FloatMode: 240
; IeeeMode: 1
; LDSByteSize: 0 bytes/workgroup (compile time only)
; SGPRBlocks: 4
; VGPRBlocks: 9
; NumSGPRsForWavesPerEU: 38
; NumVGPRsForWavesPerEU: 38
; Occupancy: 6
; WaveLimiterHint : 1
; COMPUTE_PGM_RSRC2:SCRATCH_EN: 1
; COMPUTE_PGM_RSRC2:USER_SGPR: 6
; COMPUTE_PGM_RSRC2:TRAP_HANDLER: 0
; COMPUTE_PGM_RSRC2:TGID_X_EN: 1
; COMPUTE_PGM_RSRC2:TGID_Y_EN: 0
; COMPUTE_PGM_RSRC2:TGID_Z_EN: 0
; COMPUTE_PGM_RSRC2:TIDIG_COMP_CNT: 0
	.section	.text._ZL9mul_mat_fIfLi32ELi3ELi4ELb0EEvPKT_PKfPKiPfiiiiiiiiiiiiiiii,"axG",@progbits,_ZL9mul_mat_fIfLi32ELi3ELi4ELb0EEvPKT_PKfPKiPfiiiiiiiiiiiiiiii,comdat
	.globl	_ZL9mul_mat_fIfLi32ELi3ELi4ELb0EEvPKT_PKfPKiPfiiiiiiiiiiiiiiii ; -- Begin function _ZL9mul_mat_fIfLi32ELi3ELi4ELb0EEvPKT_PKfPKiPfiiiiiiiiiiiiiiii
	.p2align	8
	.type	_ZL9mul_mat_fIfLi32ELi3ELi4ELb0EEvPKT_PKfPKiPfiiiiiiiiiiiiiiii,@function
_ZL9mul_mat_fIfLi32ELi3ELi4ELb0EEvPKT_PKfPKiPfiiiiiiiiiiiiiiii: ; @_ZL9mul_mat_fIfLi32ELi3ELi4ELb0EEvPKT_PKfPKiPfiiiiiiiiiiiiiiii
; %bb.0:
	s_add_u32 s0, s0, s7
	s_addc_u32 s1, s1, 0
	s_add_u32 s8, s4, 0x60
	s_addc_u32 s9, s5, 0
	s_getpc_b64 s[4:5]
	s_add_u32 s4, s4, __FUNCTION__._ZL9mul_mat_fIfLi32ELi3ELi1ELb1EEvPKT_PKfPKiPfiiiiiiiiiiiiiiii@rel32@lo+4
	s_addc_u32 s5, s5, __FUNCTION__._ZL9mul_mat_fIfLi32ELi3ELi1ELb1EEvPKT_PKfPKiPfiiiiiiiiiiiiiiii@rel32@hi+12
	s_getpc_b64 s[6:7]
	s_add_u32 s6, s6, _ZL14no_device_codePKciS0_iS0_@rel32@lo+4
	s_addc_u32 s7, s7, _ZL14no_device_codePKciS0_iS0_@rel32@hi+12
	v_mov_b32_e32 v0, 0x124
	v_mov_b32_e32 v1, s4
	;; [unrolled: 1-line block ×3, first 2 shown]
	s_mov_b32 s32, 0
	s_swappc_b64 s[30:31], s[6:7]
	.section	.rodata,"a",@progbits
	.p2align	6, 0x0
	.amdhsa_kernel _ZL9mul_mat_fIfLi32ELi3ELi4ELb0EEvPKT_PKfPKiPfiiiiiiiiiiiiiiii
		.amdhsa_group_segment_fixed_size 0
		.amdhsa_private_segment_fixed_size 16
		.amdhsa_kernarg_size 352
		.amdhsa_user_sgpr_count 6
		.amdhsa_user_sgpr_private_segment_buffer 1
		.amdhsa_user_sgpr_dispatch_ptr 0
		.amdhsa_user_sgpr_queue_ptr 0
		.amdhsa_user_sgpr_kernarg_segment_ptr 1
		.amdhsa_user_sgpr_dispatch_id 0
		.amdhsa_user_sgpr_flat_scratch_init 0
		.amdhsa_user_sgpr_private_segment_size 0
		.amdhsa_uses_dynamic_stack 0
		.amdhsa_system_sgpr_private_segment_wavefront_offset 1
		.amdhsa_system_sgpr_workgroup_id_x 1
		.amdhsa_system_sgpr_workgroup_id_y 0
		.amdhsa_system_sgpr_workgroup_id_z 0
		.amdhsa_system_sgpr_workgroup_info 0
		.amdhsa_system_vgpr_workitem_id 0
		.amdhsa_next_free_vgpr 38
		.amdhsa_next_free_sgpr 34
		.amdhsa_reserve_vcc 1
		.amdhsa_reserve_flat_scratch 0
		.amdhsa_float_round_mode_32 0
		.amdhsa_float_round_mode_16_64 0
		.amdhsa_float_denorm_mode_32 3
		.amdhsa_float_denorm_mode_16_64 3
		.amdhsa_dx10_clamp 1
		.amdhsa_ieee_mode 1
		.amdhsa_fp16_overflow 0
		.amdhsa_exception_fp_ieee_invalid_op 0
		.amdhsa_exception_fp_denorm_src 0
		.amdhsa_exception_fp_ieee_div_zero 0
		.amdhsa_exception_fp_ieee_overflow 0
		.amdhsa_exception_fp_ieee_underflow 0
		.amdhsa_exception_fp_ieee_inexact 0
		.amdhsa_exception_int_div_zero 0
	.end_amdhsa_kernel
	.section	.text._ZL9mul_mat_fIfLi32ELi3ELi4ELb0EEvPKT_PKfPKiPfiiiiiiiiiiiiiiii,"axG",@progbits,_ZL9mul_mat_fIfLi32ELi3ELi4ELb0EEvPKT_PKfPKiPfiiiiiiiiiiiiiiii,comdat
.Lfunc_end14:
	.size	_ZL9mul_mat_fIfLi32ELi3ELi4ELb0EEvPKT_PKfPKiPfiiiiiiiiiiiiiiii, .Lfunc_end14-_ZL9mul_mat_fIfLi32ELi3ELi4ELb0EEvPKT_PKfPKiPfiiiiiiiiiiiiiiii
                                        ; -- End function
	.set _ZL9mul_mat_fIfLi32ELi3ELi4ELb0EEvPKT_PKfPKiPfiiiiiiiiiiiiiiii.num_vgpr, max(3, .L_ZL14no_device_codePKciS0_iS0_.num_vgpr)
	.set _ZL9mul_mat_fIfLi32ELi3ELi4ELb0EEvPKT_PKfPKiPfiiiiiiiiiiiiiiii.num_agpr, max(0, .L_ZL14no_device_codePKciS0_iS0_.num_agpr)
	.set _ZL9mul_mat_fIfLi32ELi3ELi4ELb0EEvPKT_PKfPKiPfiiiiiiiiiiiiiiii.numbered_sgpr, max(33, .L_ZL14no_device_codePKciS0_iS0_.numbered_sgpr)
	.set _ZL9mul_mat_fIfLi32ELi3ELi4ELb0EEvPKT_PKfPKiPfiiiiiiiiiiiiiiii.num_named_barrier, max(0, .L_ZL14no_device_codePKciS0_iS0_.num_named_barrier)
	.set _ZL9mul_mat_fIfLi32ELi3ELi4ELb0EEvPKT_PKfPKiPfiiiiiiiiiiiiiiii.private_seg_size, 0+max(.L_ZL14no_device_codePKciS0_iS0_.private_seg_size)
	.set _ZL9mul_mat_fIfLi32ELi3ELi4ELb0EEvPKT_PKfPKiPfiiiiiiiiiiiiiiii.uses_vcc, or(1, .L_ZL14no_device_codePKciS0_iS0_.uses_vcc)
	.set _ZL9mul_mat_fIfLi32ELi3ELi4ELb0EEvPKT_PKfPKiPfiiiiiiiiiiiiiiii.uses_flat_scratch, or(0, .L_ZL14no_device_codePKciS0_iS0_.uses_flat_scratch)
	.set _ZL9mul_mat_fIfLi32ELi3ELi4ELb0EEvPKT_PKfPKiPfiiiiiiiiiiiiiiii.has_dyn_sized_stack, or(0, .L_ZL14no_device_codePKciS0_iS0_.has_dyn_sized_stack)
	.set _ZL9mul_mat_fIfLi32ELi3ELi4ELb0EEvPKT_PKfPKiPfiiiiiiiiiiiiiiii.has_recursion, or(0, .L_ZL14no_device_codePKciS0_iS0_.has_recursion)
	.set _ZL9mul_mat_fIfLi32ELi3ELi4ELb0EEvPKT_PKfPKiPfiiiiiiiiiiiiiiii.has_indirect_call, or(0, .L_ZL14no_device_codePKciS0_iS0_.has_indirect_call)
	.section	.AMDGPU.csdata,"",@progbits
; Kernel info:
; codeLenInByte = 84
; TotalNumSgprs: 38
; NumVgprs: 38
; ScratchSize: 16
; MemoryBound: 0
; FloatMode: 240
; IeeeMode: 1
; LDSByteSize: 0 bytes/workgroup (compile time only)
; SGPRBlocks: 4
; VGPRBlocks: 9
; NumSGPRsForWavesPerEU: 38
; NumVGPRsForWavesPerEU: 38
; Occupancy: 6
; WaveLimiterHint : 1
; COMPUTE_PGM_RSRC2:SCRATCH_EN: 1
; COMPUTE_PGM_RSRC2:USER_SGPR: 6
; COMPUTE_PGM_RSRC2:TRAP_HANDLER: 0
; COMPUTE_PGM_RSRC2:TGID_X_EN: 1
; COMPUTE_PGM_RSRC2:TGID_Y_EN: 0
; COMPUTE_PGM_RSRC2:TGID_Z_EN: 0
; COMPUTE_PGM_RSRC2:TIDIG_COMP_CNT: 0
	.section	.text._ZL13mul_mat_f_idsIfLi32ELi3ELi5EEvPKT_PKfPKiS6_S6_Pfiiiiiiiiiiiiii15HIP_vector_typeIjLj3EES9_,"axG",@progbits,_ZL13mul_mat_f_idsIfLi32ELi3ELi5EEvPKT_PKfPKiS6_S6_Pfiiiiiiiiiiiiii15HIP_vector_typeIjLj3EES9_,comdat
	.globl	_ZL13mul_mat_f_idsIfLi32ELi3ELi5EEvPKT_PKfPKiS6_S6_Pfiiiiiiiiiiiiii15HIP_vector_typeIjLj3EES9_ ; -- Begin function _ZL13mul_mat_f_idsIfLi32ELi3ELi5EEvPKT_PKfPKiS6_S6_Pfiiiiiiiiiiiiii15HIP_vector_typeIjLj3EES9_
	.p2align	8
	.type	_ZL13mul_mat_f_idsIfLi32ELi3ELi5EEvPKT_PKfPKiS6_S6_Pfiiiiiiiiiiiiii15HIP_vector_typeIjLj3EES9_,@function
_ZL13mul_mat_f_idsIfLi32ELi3ELi5EEvPKT_PKfPKiS6_S6_Pfiiiiiiiiiiiiii15HIP_vector_typeIjLj3EES9_: ; @_ZL13mul_mat_f_idsIfLi32ELi3ELi5EEvPKT_PKfPKiS6_S6_Pfiiiiiiiiiiiiii15HIP_vector_typeIjLj3EES9_
; %bb.0:
	s_add_u32 s0, s0, s7
	s_addc_u32 s1, s1, 0
	s_add_u32 s8, s4, 0x80
	s_addc_u32 s9, s5, 0
	s_getpc_b64 s[4:5]
	s_add_u32 s4, s4, __FUNCTION__._ZL13mul_mat_f_idsIfLi32ELi3ELi1EEvPKT_PKfPKiS6_S6_Pfiiiiiiiiiiiiii15HIP_vector_typeIjLj3EES9_@rel32@lo+4
	s_addc_u32 s5, s5, __FUNCTION__._ZL13mul_mat_f_idsIfLi32ELi3ELi1EEvPKT_PKfPKiS6_S6_Pfiiiiiiiiiiiiii15HIP_vector_typeIjLj3EES9_@rel32@hi+12
	s_getpc_b64 s[6:7]
	s_add_u32 s6, s6, _ZL14no_device_codePKciS0_iS0_@rel32@lo+4
	s_addc_u32 s7, s7, _ZL14no_device_codePKciS0_iS0_@rel32@hi+12
	v_mov_b32_e32 v0, 0x238
	v_mov_b32_e32 v1, s4
	;; [unrolled: 1-line block ×3, first 2 shown]
	s_mov_b32 s32, 0
	s_swappc_b64 s[30:31], s[6:7]
	.section	.rodata,"a",@progbits
	.p2align	6, 0x0
	.amdhsa_kernel _ZL13mul_mat_f_idsIfLi32ELi3ELi5EEvPKT_PKfPKiS6_S6_Pfiiiiiiiiiiiiii15HIP_vector_typeIjLj3EES9_
		.amdhsa_group_segment_fixed_size 0
		.amdhsa_private_segment_fixed_size 16
		.amdhsa_kernarg_size 384
		.amdhsa_user_sgpr_count 6
		.amdhsa_user_sgpr_private_segment_buffer 1
		.amdhsa_user_sgpr_dispatch_ptr 0
		.amdhsa_user_sgpr_queue_ptr 0
		.amdhsa_user_sgpr_kernarg_segment_ptr 1
		.amdhsa_user_sgpr_dispatch_id 0
		.amdhsa_user_sgpr_flat_scratch_init 0
		.amdhsa_user_sgpr_private_segment_size 0
		.amdhsa_uses_dynamic_stack 0
		.amdhsa_system_sgpr_private_segment_wavefront_offset 1
		.amdhsa_system_sgpr_workgroup_id_x 1
		.amdhsa_system_sgpr_workgroup_id_y 0
		.amdhsa_system_sgpr_workgroup_id_z 0
		.amdhsa_system_sgpr_workgroup_info 0
		.amdhsa_system_vgpr_workitem_id 0
		.amdhsa_next_free_vgpr 38
		.amdhsa_next_free_sgpr 34
		.amdhsa_reserve_vcc 1
		.amdhsa_reserve_flat_scratch 0
		.amdhsa_float_round_mode_32 0
		.amdhsa_float_round_mode_16_64 0
		.amdhsa_float_denorm_mode_32 3
		.amdhsa_float_denorm_mode_16_64 3
		.amdhsa_dx10_clamp 1
		.amdhsa_ieee_mode 1
		.amdhsa_fp16_overflow 0
		.amdhsa_exception_fp_ieee_invalid_op 0
		.amdhsa_exception_fp_denorm_src 0
		.amdhsa_exception_fp_ieee_div_zero 0
		.amdhsa_exception_fp_ieee_overflow 0
		.amdhsa_exception_fp_ieee_underflow 0
		.amdhsa_exception_fp_ieee_inexact 0
		.amdhsa_exception_int_div_zero 0
	.end_amdhsa_kernel
	.section	.text._ZL13mul_mat_f_idsIfLi32ELi3ELi5EEvPKT_PKfPKiS6_S6_Pfiiiiiiiiiiiiii15HIP_vector_typeIjLj3EES9_,"axG",@progbits,_ZL13mul_mat_f_idsIfLi32ELi3ELi5EEvPKT_PKfPKiS6_S6_Pfiiiiiiiiiiiiii15HIP_vector_typeIjLj3EES9_,comdat
.Lfunc_end15:
	.size	_ZL13mul_mat_f_idsIfLi32ELi3ELi5EEvPKT_PKfPKiS6_S6_Pfiiiiiiiiiiiiii15HIP_vector_typeIjLj3EES9_, .Lfunc_end15-_ZL13mul_mat_f_idsIfLi32ELi3ELi5EEvPKT_PKfPKiS6_S6_Pfiiiiiiiiiiiiii15HIP_vector_typeIjLj3EES9_
                                        ; -- End function
	.set _ZL13mul_mat_f_idsIfLi32ELi3ELi5EEvPKT_PKfPKiS6_S6_Pfiiiiiiiiiiiiii15HIP_vector_typeIjLj3EES9_.num_vgpr, max(3, .L_ZL14no_device_codePKciS0_iS0_.num_vgpr)
	.set _ZL13mul_mat_f_idsIfLi32ELi3ELi5EEvPKT_PKfPKiS6_S6_Pfiiiiiiiiiiiiii15HIP_vector_typeIjLj3EES9_.num_agpr, max(0, .L_ZL14no_device_codePKciS0_iS0_.num_agpr)
	.set _ZL13mul_mat_f_idsIfLi32ELi3ELi5EEvPKT_PKfPKiS6_S6_Pfiiiiiiiiiiiiii15HIP_vector_typeIjLj3EES9_.numbered_sgpr, max(33, .L_ZL14no_device_codePKciS0_iS0_.numbered_sgpr)
	.set _ZL13mul_mat_f_idsIfLi32ELi3ELi5EEvPKT_PKfPKiS6_S6_Pfiiiiiiiiiiiiii15HIP_vector_typeIjLj3EES9_.num_named_barrier, max(0, .L_ZL14no_device_codePKciS0_iS0_.num_named_barrier)
	.set _ZL13mul_mat_f_idsIfLi32ELi3ELi5EEvPKT_PKfPKiS6_S6_Pfiiiiiiiiiiiiii15HIP_vector_typeIjLj3EES9_.private_seg_size, 0+max(.L_ZL14no_device_codePKciS0_iS0_.private_seg_size)
	.set _ZL13mul_mat_f_idsIfLi32ELi3ELi5EEvPKT_PKfPKiS6_S6_Pfiiiiiiiiiiiiii15HIP_vector_typeIjLj3EES9_.uses_vcc, or(1, .L_ZL14no_device_codePKciS0_iS0_.uses_vcc)
	.set _ZL13mul_mat_f_idsIfLi32ELi3ELi5EEvPKT_PKfPKiS6_S6_Pfiiiiiiiiiiiiii15HIP_vector_typeIjLj3EES9_.uses_flat_scratch, or(0, .L_ZL14no_device_codePKciS0_iS0_.uses_flat_scratch)
	.set _ZL13mul_mat_f_idsIfLi32ELi3ELi5EEvPKT_PKfPKiS6_S6_Pfiiiiiiiiiiiiii15HIP_vector_typeIjLj3EES9_.has_dyn_sized_stack, or(0, .L_ZL14no_device_codePKciS0_iS0_.has_dyn_sized_stack)
	.set _ZL13mul_mat_f_idsIfLi32ELi3ELi5EEvPKT_PKfPKiS6_S6_Pfiiiiiiiiiiiiii15HIP_vector_typeIjLj3EES9_.has_recursion, or(0, .L_ZL14no_device_codePKciS0_iS0_.has_recursion)
	.set _ZL13mul_mat_f_idsIfLi32ELi3ELi5EEvPKT_PKfPKiS6_S6_Pfiiiiiiiiiiiiii15HIP_vector_typeIjLj3EES9_.has_indirect_call, or(0, .L_ZL14no_device_codePKciS0_iS0_.has_indirect_call)
	.section	.AMDGPU.csdata,"",@progbits
; Kernel info:
; codeLenInByte = 84
; TotalNumSgprs: 38
; NumVgprs: 38
; ScratchSize: 16
; MemoryBound: 0
; FloatMode: 240
; IeeeMode: 1
; LDSByteSize: 0 bytes/workgroup (compile time only)
; SGPRBlocks: 4
; VGPRBlocks: 9
; NumSGPRsForWavesPerEU: 38
; NumVGPRsForWavesPerEU: 38
; Occupancy: 6
; WaveLimiterHint : 1
; COMPUTE_PGM_RSRC2:SCRATCH_EN: 1
; COMPUTE_PGM_RSRC2:USER_SGPR: 6
; COMPUTE_PGM_RSRC2:TRAP_HANDLER: 0
; COMPUTE_PGM_RSRC2:TGID_X_EN: 1
; COMPUTE_PGM_RSRC2:TGID_Y_EN: 0
; COMPUTE_PGM_RSRC2:TGID_Z_EN: 0
; COMPUTE_PGM_RSRC2:TIDIG_COMP_CNT: 0
	.section	.text._ZL9mul_mat_fIfLi32ELi3ELi5ELb1EEvPKT_PKfPKiPfiiiiiiiiiiiiiiii,"axG",@progbits,_ZL9mul_mat_fIfLi32ELi3ELi5ELb1EEvPKT_PKfPKiPfiiiiiiiiiiiiiiii,comdat
	.globl	_ZL9mul_mat_fIfLi32ELi3ELi5ELb1EEvPKT_PKfPKiPfiiiiiiiiiiiiiiii ; -- Begin function _ZL9mul_mat_fIfLi32ELi3ELi5ELb1EEvPKT_PKfPKiPfiiiiiiiiiiiiiiii
	.p2align	8
	.type	_ZL9mul_mat_fIfLi32ELi3ELi5ELb1EEvPKT_PKfPKiPfiiiiiiiiiiiiiiii,@function
_ZL9mul_mat_fIfLi32ELi3ELi5ELb1EEvPKT_PKfPKiPfiiiiiiiiiiiiiiii: ; @_ZL9mul_mat_fIfLi32ELi3ELi5ELb1EEvPKT_PKfPKiPfiiiiiiiiiiiiiiii
; %bb.0:
	s_add_u32 s0, s0, s7
	s_addc_u32 s1, s1, 0
	s_add_u32 s8, s4, 0x60
	s_addc_u32 s9, s5, 0
	s_getpc_b64 s[4:5]
	s_add_u32 s4, s4, __FUNCTION__._ZL9mul_mat_fIfLi32ELi3ELi1ELb1EEvPKT_PKfPKiPfiiiiiiiiiiiiiiii@rel32@lo+4
	s_addc_u32 s5, s5, __FUNCTION__._ZL9mul_mat_fIfLi32ELi3ELi1ELb1EEvPKT_PKfPKiPfiiiiiiiiiiiiiiii@rel32@hi+12
	s_getpc_b64 s[6:7]
	s_add_u32 s6, s6, _ZL14no_device_codePKciS0_iS0_@rel32@lo+4
	s_addc_u32 s7, s7, _ZL14no_device_codePKciS0_iS0_@rel32@hi+12
	v_mov_b32_e32 v0, 0x124
	v_mov_b32_e32 v1, s4
	;; [unrolled: 1-line block ×3, first 2 shown]
	s_mov_b32 s32, 0
	s_swappc_b64 s[30:31], s[6:7]
	.section	.rodata,"a",@progbits
	.p2align	6, 0x0
	.amdhsa_kernel _ZL9mul_mat_fIfLi32ELi3ELi5ELb1EEvPKT_PKfPKiPfiiiiiiiiiiiiiiii
		.amdhsa_group_segment_fixed_size 0
		.amdhsa_private_segment_fixed_size 16
		.amdhsa_kernarg_size 352
		.amdhsa_user_sgpr_count 6
		.amdhsa_user_sgpr_private_segment_buffer 1
		.amdhsa_user_sgpr_dispatch_ptr 0
		.amdhsa_user_sgpr_queue_ptr 0
		.amdhsa_user_sgpr_kernarg_segment_ptr 1
		.amdhsa_user_sgpr_dispatch_id 0
		.amdhsa_user_sgpr_flat_scratch_init 0
		.amdhsa_user_sgpr_private_segment_size 0
		.amdhsa_uses_dynamic_stack 0
		.amdhsa_system_sgpr_private_segment_wavefront_offset 1
		.amdhsa_system_sgpr_workgroup_id_x 1
		.amdhsa_system_sgpr_workgroup_id_y 0
		.amdhsa_system_sgpr_workgroup_id_z 0
		.amdhsa_system_sgpr_workgroup_info 0
		.amdhsa_system_vgpr_workitem_id 0
		.amdhsa_next_free_vgpr 38
		.amdhsa_next_free_sgpr 34
		.amdhsa_reserve_vcc 1
		.amdhsa_reserve_flat_scratch 0
		.amdhsa_float_round_mode_32 0
		.amdhsa_float_round_mode_16_64 0
		.amdhsa_float_denorm_mode_32 3
		.amdhsa_float_denorm_mode_16_64 3
		.amdhsa_dx10_clamp 1
		.amdhsa_ieee_mode 1
		.amdhsa_fp16_overflow 0
		.amdhsa_exception_fp_ieee_invalid_op 0
		.amdhsa_exception_fp_denorm_src 0
		.amdhsa_exception_fp_ieee_div_zero 0
		.amdhsa_exception_fp_ieee_overflow 0
		.amdhsa_exception_fp_ieee_underflow 0
		.amdhsa_exception_fp_ieee_inexact 0
		.amdhsa_exception_int_div_zero 0
	.end_amdhsa_kernel
	.section	.text._ZL9mul_mat_fIfLi32ELi3ELi5ELb1EEvPKT_PKfPKiPfiiiiiiiiiiiiiiii,"axG",@progbits,_ZL9mul_mat_fIfLi32ELi3ELi5ELb1EEvPKT_PKfPKiPfiiiiiiiiiiiiiiii,comdat
.Lfunc_end16:
	.size	_ZL9mul_mat_fIfLi32ELi3ELi5ELb1EEvPKT_PKfPKiPfiiiiiiiiiiiiiiii, .Lfunc_end16-_ZL9mul_mat_fIfLi32ELi3ELi5ELb1EEvPKT_PKfPKiPfiiiiiiiiiiiiiiii
                                        ; -- End function
	.set _ZL9mul_mat_fIfLi32ELi3ELi5ELb1EEvPKT_PKfPKiPfiiiiiiiiiiiiiiii.num_vgpr, max(3, .L_ZL14no_device_codePKciS0_iS0_.num_vgpr)
	.set _ZL9mul_mat_fIfLi32ELi3ELi5ELb1EEvPKT_PKfPKiPfiiiiiiiiiiiiiiii.num_agpr, max(0, .L_ZL14no_device_codePKciS0_iS0_.num_agpr)
	.set _ZL9mul_mat_fIfLi32ELi3ELi5ELb1EEvPKT_PKfPKiPfiiiiiiiiiiiiiiii.numbered_sgpr, max(33, .L_ZL14no_device_codePKciS0_iS0_.numbered_sgpr)
	.set _ZL9mul_mat_fIfLi32ELi3ELi5ELb1EEvPKT_PKfPKiPfiiiiiiiiiiiiiiii.num_named_barrier, max(0, .L_ZL14no_device_codePKciS0_iS0_.num_named_barrier)
	.set _ZL9mul_mat_fIfLi32ELi3ELi5ELb1EEvPKT_PKfPKiPfiiiiiiiiiiiiiiii.private_seg_size, 0+max(.L_ZL14no_device_codePKciS0_iS0_.private_seg_size)
	.set _ZL9mul_mat_fIfLi32ELi3ELi5ELb1EEvPKT_PKfPKiPfiiiiiiiiiiiiiiii.uses_vcc, or(1, .L_ZL14no_device_codePKciS0_iS0_.uses_vcc)
	.set _ZL9mul_mat_fIfLi32ELi3ELi5ELb1EEvPKT_PKfPKiPfiiiiiiiiiiiiiiii.uses_flat_scratch, or(0, .L_ZL14no_device_codePKciS0_iS0_.uses_flat_scratch)
	.set _ZL9mul_mat_fIfLi32ELi3ELi5ELb1EEvPKT_PKfPKiPfiiiiiiiiiiiiiiii.has_dyn_sized_stack, or(0, .L_ZL14no_device_codePKciS0_iS0_.has_dyn_sized_stack)
	.set _ZL9mul_mat_fIfLi32ELi3ELi5ELb1EEvPKT_PKfPKiPfiiiiiiiiiiiiiiii.has_recursion, or(0, .L_ZL14no_device_codePKciS0_iS0_.has_recursion)
	.set _ZL9mul_mat_fIfLi32ELi3ELi5ELb1EEvPKT_PKfPKiPfiiiiiiiiiiiiiiii.has_indirect_call, or(0, .L_ZL14no_device_codePKciS0_iS0_.has_indirect_call)
	.section	.AMDGPU.csdata,"",@progbits
; Kernel info:
; codeLenInByte = 84
; TotalNumSgprs: 38
; NumVgprs: 38
; ScratchSize: 16
; MemoryBound: 0
; FloatMode: 240
; IeeeMode: 1
; LDSByteSize: 0 bytes/workgroup (compile time only)
; SGPRBlocks: 4
; VGPRBlocks: 9
; NumSGPRsForWavesPerEU: 38
; NumVGPRsForWavesPerEU: 38
; Occupancy: 6
; WaveLimiterHint : 1
; COMPUTE_PGM_RSRC2:SCRATCH_EN: 1
; COMPUTE_PGM_RSRC2:USER_SGPR: 6
; COMPUTE_PGM_RSRC2:TRAP_HANDLER: 0
; COMPUTE_PGM_RSRC2:TGID_X_EN: 1
; COMPUTE_PGM_RSRC2:TGID_Y_EN: 0
; COMPUTE_PGM_RSRC2:TGID_Z_EN: 0
; COMPUTE_PGM_RSRC2:TIDIG_COMP_CNT: 0
	.section	.text._ZL9mul_mat_fIfLi32ELi3ELi5ELb0EEvPKT_PKfPKiPfiiiiiiiiiiiiiiii,"axG",@progbits,_ZL9mul_mat_fIfLi32ELi3ELi5ELb0EEvPKT_PKfPKiPfiiiiiiiiiiiiiiii,comdat
	.globl	_ZL9mul_mat_fIfLi32ELi3ELi5ELb0EEvPKT_PKfPKiPfiiiiiiiiiiiiiiii ; -- Begin function _ZL9mul_mat_fIfLi32ELi3ELi5ELb0EEvPKT_PKfPKiPfiiiiiiiiiiiiiiii
	.p2align	8
	.type	_ZL9mul_mat_fIfLi32ELi3ELi5ELb0EEvPKT_PKfPKiPfiiiiiiiiiiiiiiii,@function
_ZL9mul_mat_fIfLi32ELi3ELi5ELb0EEvPKT_PKfPKiPfiiiiiiiiiiiiiiii: ; @_ZL9mul_mat_fIfLi32ELi3ELi5ELb0EEvPKT_PKfPKiPfiiiiiiiiiiiiiiii
; %bb.0:
	s_add_u32 s0, s0, s7
	s_addc_u32 s1, s1, 0
	s_add_u32 s8, s4, 0x60
	s_addc_u32 s9, s5, 0
	s_getpc_b64 s[4:5]
	s_add_u32 s4, s4, __FUNCTION__._ZL9mul_mat_fIfLi32ELi3ELi1ELb1EEvPKT_PKfPKiPfiiiiiiiiiiiiiiii@rel32@lo+4
	s_addc_u32 s5, s5, __FUNCTION__._ZL9mul_mat_fIfLi32ELi3ELi1ELb1EEvPKT_PKfPKiPfiiiiiiiiiiiiiiii@rel32@hi+12
	s_getpc_b64 s[6:7]
	s_add_u32 s6, s6, _ZL14no_device_codePKciS0_iS0_@rel32@lo+4
	s_addc_u32 s7, s7, _ZL14no_device_codePKciS0_iS0_@rel32@hi+12
	v_mov_b32_e32 v0, 0x124
	v_mov_b32_e32 v1, s4
	v_mov_b32_e32 v2, s5
	s_mov_b32 s32, 0
	s_swappc_b64 s[30:31], s[6:7]
	.section	.rodata,"a",@progbits
	.p2align	6, 0x0
	.amdhsa_kernel _ZL9mul_mat_fIfLi32ELi3ELi5ELb0EEvPKT_PKfPKiPfiiiiiiiiiiiiiiii
		.amdhsa_group_segment_fixed_size 0
		.amdhsa_private_segment_fixed_size 16
		.amdhsa_kernarg_size 352
		.amdhsa_user_sgpr_count 6
		.amdhsa_user_sgpr_private_segment_buffer 1
		.amdhsa_user_sgpr_dispatch_ptr 0
		.amdhsa_user_sgpr_queue_ptr 0
		.amdhsa_user_sgpr_kernarg_segment_ptr 1
		.amdhsa_user_sgpr_dispatch_id 0
		.amdhsa_user_sgpr_flat_scratch_init 0
		.amdhsa_user_sgpr_private_segment_size 0
		.amdhsa_uses_dynamic_stack 0
		.amdhsa_system_sgpr_private_segment_wavefront_offset 1
		.amdhsa_system_sgpr_workgroup_id_x 1
		.amdhsa_system_sgpr_workgroup_id_y 0
		.amdhsa_system_sgpr_workgroup_id_z 0
		.amdhsa_system_sgpr_workgroup_info 0
		.amdhsa_system_vgpr_workitem_id 0
		.amdhsa_next_free_vgpr 38
		.amdhsa_next_free_sgpr 34
		.amdhsa_reserve_vcc 1
		.amdhsa_reserve_flat_scratch 0
		.amdhsa_float_round_mode_32 0
		.amdhsa_float_round_mode_16_64 0
		.amdhsa_float_denorm_mode_32 3
		.amdhsa_float_denorm_mode_16_64 3
		.amdhsa_dx10_clamp 1
		.amdhsa_ieee_mode 1
		.amdhsa_fp16_overflow 0
		.amdhsa_exception_fp_ieee_invalid_op 0
		.amdhsa_exception_fp_denorm_src 0
		.amdhsa_exception_fp_ieee_div_zero 0
		.amdhsa_exception_fp_ieee_overflow 0
		.amdhsa_exception_fp_ieee_underflow 0
		.amdhsa_exception_fp_ieee_inexact 0
		.amdhsa_exception_int_div_zero 0
	.end_amdhsa_kernel
	.section	.text._ZL9mul_mat_fIfLi32ELi3ELi5ELb0EEvPKT_PKfPKiPfiiiiiiiiiiiiiiii,"axG",@progbits,_ZL9mul_mat_fIfLi32ELi3ELi5ELb0EEvPKT_PKfPKiPfiiiiiiiiiiiiiiii,comdat
.Lfunc_end17:
	.size	_ZL9mul_mat_fIfLi32ELi3ELi5ELb0EEvPKT_PKfPKiPfiiiiiiiiiiiiiiii, .Lfunc_end17-_ZL9mul_mat_fIfLi32ELi3ELi5ELb0EEvPKT_PKfPKiPfiiiiiiiiiiiiiiii
                                        ; -- End function
	.set _ZL9mul_mat_fIfLi32ELi3ELi5ELb0EEvPKT_PKfPKiPfiiiiiiiiiiiiiiii.num_vgpr, max(3, .L_ZL14no_device_codePKciS0_iS0_.num_vgpr)
	.set _ZL9mul_mat_fIfLi32ELi3ELi5ELb0EEvPKT_PKfPKiPfiiiiiiiiiiiiiiii.num_agpr, max(0, .L_ZL14no_device_codePKciS0_iS0_.num_agpr)
	.set _ZL9mul_mat_fIfLi32ELi3ELi5ELb0EEvPKT_PKfPKiPfiiiiiiiiiiiiiiii.numbered_sgpr, max(33, .L_ZL14no_device_codePKciS0_iS0_.numbered_sgpr)
	.set _ZL9mul_mat_fIfLi32ELi3ELi5ELb0EEvPKT_PKfPKiPfiiiiiiiiiiiiiiii.num_named_barrier, max(0, .L_ZL14no_device_codePKciS0_iS0_.num_named_barrier)
	.set _ZL9mul_mat_fIfLi32ELi3ELi5ELb0EEvPKT_PKfPKiPfiiiiiiiiiiiiiiii.private_seg_size, 0+max(.L_ZL14no_device_codePKciS0_iS0_.private_seg_size)
	.set _ZL9mul_mat_fIfLi32ELi3ELi5ELb0EEvPKT_PKfPKiPfiiiiiiiiiiiiiiii.uses_vcc, or(1, .L_ZL14no_device_codePKciS0_iS0_.uses_vcc)
	.set _ZL9mul_mat_fIfLi32ELi3ELi5ELb0EEvPKT_PKfPKiPfiiiiiiiiiiiiiiii.uses_flat_scratch, or(0, .L_ZL14no_device_codePKciS0_iS0_.uses_flat_scratch)
	.set _ZL9mul_mat_fIfLi32ELi3ELi5ELb0EEvPKT_PKfPKiPfiiiiiiiiiiiiiiii.has_dyn_sized_stack, or(0, .L_ZL14no_device_codePKciS0_iS0_.has_dyn_sized_stack)
	.set _ZL9mul_mat_fIfLi32ELi3ELi5ELb0EEvPKT_PKfPKiPfiiiiiiiiiiiiiiii.has_recursion, or(0, .L_ZL14no_device_codePKciS0_iS0_.has_recursion)
	.set _ZL9mul_mat_fIfLi32ELi3ELi5ELb0EEvPKT_PKfPKiPfiiiiiiiiiiiiiiii.has_indirect_call, or(0, .L_ZL14no_device_codePKciS0_iS0_.has_indirect_call)
	.section	.AMDGPU.csdata,"",@progbits
; Kernel info:
; codeLenInByte = 84
; TotalNumSgprs: 38
; NumVgprs: 38
; ScratchSize: 16
; MemoryBound: 0
; FloatMode: 240
; IeeeMode: 1
; LDSByteSize: 0 bytes/workgroup (compile time only)
; SGPRBlocks: 4
; VGPRBlocks: 9
; NumSGPRsForWavesPerEU: 38
; NumVGPRsForWavesPerEU: 38
; Occupancy: 6
; WaveLimiterHint : 1
; COMPUTE_PGM_RSRC2:SCRATCH_EN: 1
; COMPUTE_PGM_RSRC2:USER_SGPR: 6
; COMPUTE_PGM_RSRC2:TRAP_HANDLER: 0
; COMPUTE_PGM_RSRC2:TGID_X_EN: 1
; COMPUTE_PGM_RSRC2:TGID_Y_EN: 0
; COMPUTE_PGM_RSRC2:TGID_Z_EN: 0
; COMPUTE_PGM_RSRC2:TIDIG_COMP_CNT: 0
	.section	.text._ZL13mul_mat_f_idsIfLi32ELi3ELi6EEvPKT_PKfPKiS6_S6_Pfiiiiiiiiiiiiii15HIP_vector_typeIjLj3EES9_,"axG",@progbits,_ZL13mul_mat_f_idsIfLi32ELi3ELi6EEvPKT_PKfPKiS6_S6_Pfiiiiiiiiiiiiii15HIP_vector_typeIjLj3EES9_,comdat
	.globl	_ZL13mul_mat_f_idsIfLi32ELi3ELi6EEvPKT_PKfPKiS6_S6_Pfiiiiiiiiiiiiii15HIP_vector_typeIjLj3EES9_ ; -- Begin function _ZL13mul_mat_f_idsIfLi32ELi3ELi6EEvPKT_PKfPKiS6_S6_Pfiiiiiiiiiiiiii15HIP_vector_typeIjLj3EES9_
	.p2align	8
	.type	_ZL13mul_mat_f_idsIfLi32ELi3ELi6EEvPKT_PKfPKiS6_S6_Pfiiiiiiiiiiiiii15HIP_vector_typeIjLj3EES9_,@function
_ZL13mul_mat_f_idsIfLi32ELi3ELi6EEvPKT_PKfPKiS6_S6_Pfiiiiiiiiiiiiii15HIP_vector_typeIjLj3EES9_: ; @_ZL13mul_mat_f_idsIfLi32ELi3ELi6EEvPKT_PKfPKiS6_S6_Pfiiiiiiiiiiiiii15HIP_vector_typeIjLj3EES9_
; %bb.0:
	s_add_u32 s0, s0, s7
	s_addc_u32 s1, s1, 0
	s_add_u32 s8, s4, 0x80
	s_addc_u32 s9, s5, 0
	s_getpc_b64 s[4:5]
	s_add_u32 s4, s4, __FUNCTION__._ZL13mul_mat_f_idsIfLi32ELi3ELi1EEvPKT_PKfPKiS6_S6_Pfiiiiiiiiiiiiii15HIP_vector_typeIjLj3EES9_@rel32@lo+4
	s_addc_u32 s5, s5, __FUNCTION__._ZL13mul_mat_f_idsIfLi32ELi3ELi1EEvPKT_PKfPKiS6_S6_Pfiiiiiiiiiiiiii15HIP_vector_typeIjLj3EES9_@rel32@hi+12
	s_getpc_b64 s[6:7]
	s_add_u32 s6, s6, _ZL14no_device_codePKciS0_iS0_@rel32@lo+4
	s_addc_u32 s7, s7, _ZL14no_device_codePKciS0_iS0_@rel32@hi+12
	v_mov_b32_e32 v0, 0x238
	v_mov_b32_e32 v1, s4
	;; [unrolled: 1-line block ×3, first 2 shown]
	s_mov_b32 s32, 0
	s_swappc_b64 s[30:31], s[6:7]
	.section	.rodata,"a",@progbits
	.p2align	6, 0x0
	.amdhsa_kernel _ZL13mul_mat_f_idsIfLi32ELi3ELi6EEvPKT_PKfPKiS6_S6_Pfiiiiiiiiiiiiii15HIP_vector_typeIjLj3EES9_
		.amdhsa_group_segment_fixed_size 0
		.amdhsa_private_segment_fixed_size 16
		.amdhsa_kernarg_size 384
		.amdhsa_user_sgpr_count 6
		.amdhsa_user_sgpr_private_segment_buffer 1
		.amdhsa_user_sgpr_dispatch_ptr 0
		.amdhsa_user_sgpr_queue_ptr 0
		.amdhsa_user_sgpr_kernarg_segment_ptr 1
		.amdhsa_user_sgpr_dispatch_id 0
		.amdhsa_user_sgpr_flat_scratch_init 0
		.amdhsa_user_sgpr_private_segment_size 0
		.amdhsa_uses_dynamic_stack 0
		.amdhsa_system_sgpr_private_segment_wavefront_offset 1
		.amdhsa_system_sgpr_workgroup_id_x 1
		.amdhsa_system_sgpr_workgroup_id_y 0
		.amdhsa_system_sgpr_workgroup_id_z 0
		.amdhsa_system_sgpr_workgroup_info 0
		.amdhsa_system_vgpr_workitem_id 0
		.amdhsa_next_free_vgpr 38
		.amdhsa_next_free_sgpr 34
		.amdhsa_reserve_vcc 1
		.amdhsa_reserve_flat_scratch 0
		.amdhsa_float_round_mode_32 0
		.amdhsa_float_round_mode_16_64 0
		.amdhsa_float_denorm_mode_32 3
		.amdhsa_float_denorm_mode_16_64 3
		.amdhsa_dx10_clamp 1
		.amdhsa_ieee_mode 1
		.amdhsa_fp16_overflow 0
		.amdhsa_exception_fp_ieee_invalid_op 0
		.amdhsa_exception_fp_denorm_src 0
		.amdhsa_exception_fp_ieee_div_zero 0
		.amdhsa_exception_fp_ieee_overflow 0
		.amdhsa_exception_fp_ieee_underflow 0
		.amdhsa_exception_fp_ieee_inexact 0
		.amdhsa_exception_int_div_zero 0
	.end_amdhsa_kernel
	.section	.text._ZL13mul_mat_f_idsIfLi32ELi3ELi6EEvPKT_PKfPKiS6_S6_Pfiiiiiiiiiiiiii15HIP_vector_typeIjLj3EES9_,"axG",@progbits,_ZL13mul_mat_f_idsIfLi32ELi3ELi6EEvPKT_PKfPKiS6_S6_Pfiiiiiiiiiiiiii15HIP_vector_typeIjLj3EES9_,comdat
.Lfunc_end18:
	.size	_ZL13mul_mat_f_idsIfLi32ELi3ELi6EEvPKT_PKfPKiS6_S6_Pfiiiiiiiiiiiiii15HIP_vector_typeIjLj3EES9_, .Lfunc_end18-_ZL13mul_mat_f_idsIfLi32ELi3ELi6EEvPKT_PKfPKiS6_S6_Pfiiiiiiiiiiiiii15HIP_vector_typeIjLj3EES9_
                                        ; -- End function
	.set _ZL13mul_mat_f_idsIfLi32ELi3ELi6EEvPKT_PKfPKiS6_S6_Pfiiiiiiiiiiiiii15HIP_vector_typeIjLj3EES9_.num_vgpr, max(3, .L_ZL14no_device_codePKciS0_iS0_.num_vgpr)
	.set _ZL13mul_mat_f_idsIfLi32ELi3ELi6EEvPKT_PKfPKiS6_S6_Pfiiiiiiiiiiiiii15HIP_vector_typeIjLj3EES9_.num_agpr, max(0, .L_ZL14no_device_codePKciS0_iS0_.num_agpr)
	.set _ZL13mul_mat_f_idsIfLi32ELi3ELi6EEvPKT_PKfPKiS6_S6_Pfiiiiiiiiiiiiii15HIP_vector_typeIjLj3EES9_.numbered_sgpr, max(33, .L_ZL14no_device_codePKciS0_iS0_.numbered_sgpr)
	.set _ZL13mul_mat_f_idsIfLi32ELi3ELi6EEvPKT_PKfPKiS6_S6_Pfiiiiiiiiiiiiii15HIP_vector_typeIjLj3EES9_.num_named_barrier, max(0, .L_ZL14no_device_codePKciS0_iS0_.num_named_barrier)
	.set _ZL13mul_mat_f_idsIfLi32ELi3ELi6EEvPKT_PKfPKiS6_S6_Pfiiiiiiiiiiiiii15HIP_vector_typeIjLj3EES9_.private_seg_size, 0+max(.L_ZL14no_device_codePKciS0_iS0_.private_seg_size)
	.set _ZL13mul_mat_f_idsIfLi32ELi3ELi6EEvPKT_PKfPKiS6_S6_Pfiiiiiiiiiiiiii15HIP_vector_typeIjLj3EES9_.uses_vcc, or(1, .L_ZL14no_device_codePKciS0_iS0_.uses_vcc)
	.set _ZL13mul_mat_f_idsIfLi32ELi3ELi6EEvPKT_PKfPKiS6_S6_Pfiiiiiiiiiiiiii15HIP_vector_typeIjLj3EES9_.uses_flat_scratch, or(0, .L_ZL14no_device_codePKciS0_iS0_.uses_flat_scratch)
	.set _ZL13mul_mat_f_idsIfLi32ELi3ELi6EEvPKT_PKfPKiS6_S6_Pfiiiiiiiiiiiiii15HIP_vector_typeIjLj3EES9_.has_dyn_sized_stack, or(0, .L_ZL14no_device_codePKciS0_iS0_.has_dyn_sized_stack)
	.set _ZL13mul_mat_f_idsIfLi32ELi3ELi6EEvPKT_PKfPKiS6_S6_Pfiiiiiiiiiiiiii15HIP_vector_typeIjLj3EES9_.has_recursion, or(0, .L_ZL14no_device_codePKciS0_iS0_.has_recursion)
	.set _ZL13mul_mat_f_idsIfLi32ELi3ELi6EEvPKT_PKfPKiS6_S6_Pfiiiiiiiiiiiiii15HIP_vector_typeIjLj3EES9_.has_indirect_call, or(0, .L_ZL14no_device_codePKciS0_iS0_.has_indirect_call)
	.section	.AMDGPU.csdata,"",@progbits
; Kernel info:
; codeLenInByte = 84
; TotalNumSgprs: 38
; NumVgprs: 38
; ScratchSize: 16
; MemoryBound: 0
; FloatMode: 240
; IeeeMode: 1
; LDSByteSize: 0 bytes/workgroup (compile time only)
; SGPRBlocks: 4
; VGPRBlocks: 9
; NumSGPRsForWavesPerEU: 38
; NumVGPRsForWavesPerEU: 38
; Occupancy: 6
; WaveLimiterHint : 1
; COMPUTE_PGM_RSRC2:SCRATCH_EN: 1
; COMPUTE_PGM_RSRC2:USER_SGPR: 6
; COMPUTE_PGM_RSRC2:TRAP_HANDLER: 0
; COMPUTE_PGM_RSRC2:TGID_X_EN: 1
; COMPUTE_PGM_RSRC2:TGID_Y_EN: 0
; COMPUTE_PGM_RSRC2:TGID_Z_EN: 0
; COMPUTE_PGM_RSRC2:TIDIG_COMP_CNT: 0
	.section	.text._ZL9mul_mat_fIfLi32ELi3ELi6ELb1EEvPKT_PKfPKiPfiiiiiiiiiiiiiiii,"axG",@progbits,_ZL9mul_mat_fIfLi32ELi3ELi6ELb1EEvPKT_PKfPKiPfiiiiiiiiiiiiiiii,comdat
	.globl	_ZL9mul_mat_fIfLi32ELi3ELi6ELb1EEvPKT_PKfPKiPfiiiiiiiiiiiiiiii ; -- Begin function _ZL9mul_mat_fIfLi32ELi3ELi6ELb1EEvPKT_PKfPKiPfiiiiiiiiiiiiiiii
	.p2align	8
	.type	_ZL9mul_mat_fIfLi32ELi3ELi6ELb1EEvPKT_PKfPKiPfiiiiiiiiiiiiiiii,@function
_ZL9mul_mat_fIfLi32ELi3ELi6ELb1EEvPKT_PKfPKiPfiiiiiiiiiiiiiiii: ; @_ZL9mul_mat_fIfLi32ELi3ELi6ELb1EEvPKT_PKfPKiPfiiiiiiiiiiiiiiii
; %bb.0:
	s_add_u32 s0, s0, s7
	s_addc_u32 s1, s1, 0
	s_add_u32 s8, s4, 0x60
	s_addc_u32 s9, s5, 0
	s_getpc_b64 s[4:5]
	s_add_u32 s4, s4, __FUNCTION__._ZL9mul_mat_fIfLi32ELi3ELi1ELb1EEvPKT_PKfPKiPfiiiiiiiiiiiiiiii@rel32@lo+4
	s_addc_u32 s5, s5, __FUNCTION__._ZL9mul_mat_fIfLi32ELi3ELi1ELb1EEvPKT_PKfPKiPfiiiiiiiiiiiiiiii@rel32@hi+12
	s_getpc_b64 s[6:7]
	s_add_u32 s6, s6, _ZL14no_device_codePKciS0_iS0_@rel32@lo+4
	s_addc_u32 s7, s7, _ZL14no_device_codePKciS0_iS0_@rel32@hi+12
	v_mov_b32_e32 v0, 0x124
	v_mov_b32_e32 v1, s4
	;; [unrolled: 1-line block ×3, first 2 shown]
	s_mov_b32 s32, 0
	s_swappc_b64 s[30:31], s[6:7]
	.section	.rodata,"a",@progbits
	.p2align	6, 0x0
	.amdhsa_kernel _ZL9mul_mat_fIfLi32ELi3ELi6ELb1EEvPKT_PKfPKiPfiiiiiiiiiiiiiiii
		.amdhsa_group_segment_fixed_size 0
		.amdhsa_private_segment_fixed_size 16
		.amdhsa_kernarg_size 352
		.amdhsa_user_sgpr_count 6
		.amdhsa_user_sgpr_private_segment_buffer 1
		.amdhsa_user_sgpr_dispatch_ptr 0
		.amdhsa_user_sgpr_queue_ptr 0
		.amdhsa_user_sgpr_kernarg_segment_ptr 1
		.amdhsa_user_sgpr_dispatch_id 0
		.amdhsa_user_sgpr_flat_scratch_init 0
		.amdhsa_user_sgpr_private_segment_size 0
		.amdhsa_uses_dynamic_stack 0
		.amdhsa_system_sgpr_private_segment_wavefront_offset 1
		.amdhsa_system_sgpr_workgroup_id_x 1
		.amdhsa_system_sgpr_workgroup_id_y 0
		.amdhsa_system_sgpr_workgroup_id_z 0
		.amdhsa_system_sgpr_workgroup_info 0
		.amdhsa_system_vgpr_workitem_id 0
		.amdhsa_next_free_vgpr 38
		.amdhsa_next_free_sgpr 34
		.amdhsa_reserve_vcc 1
		.amdhsa_reserve_flat_scratch 0
		.amdhsa_float_round_mode_32 0
		.amdhsa_float_round_mode_16_64 0
		.amdhsa_float_denorm_mode_32 3
		.amdhsa_float_denorm_mode_16_64 3
		.amdhsa_dx10_clamp 1
		.amdhsa_ieee_mode 1
		.amdhsa_fp16_overflow 0
		.amdhsa_exception_fp_ieee_invalid_op 0
		.amdhsa_exception_fp_denorm_src 0
		.amdhsa_exception_fp_ieee_div_zero 0
		.amdhsa_exception_fp_ieee_overflow 0
		.amdhsa_exception_fp_ieee_underflow 0
		.amdhsa_exception_fp_ieee_inexact 0
		.amdhsa_exception_int_div_zero 0
	.end_amdhsa_kernel
	.section	.text._ZL9mul_mat_fIfLi32ELi3ELi6ELb1EEvPKT_PKfPKiPfiiiiiiiiiiiiiiii,"axG",@progbits,_ZL9mul_mat_fIfLi32ELi3ELi6ELb1EEvPKT_PKfPKiPfiiiiiiiiiiiiiiii,comdat
.Lfunc_end19:
	.size	_ZL9mul_mat_fIfLi32ELi3ELi6ELb1EEvPKT_PKfPKiPfiiiiiiiiiiiiiiii, .Lfunc_end19-_ZL9mul_mat_fIfLi32ELi3ELi6ELb1EEvPKT_PKfPKiPfiiiiiiiiiiiiiiii
                                        ; -- End function
	.set _ZL9mul_mat_fIfLi32ELi3ELi6ELb1EEvPKT_PKfPKiPfiiiiiiiiiiiiiiii.num_vgpr, max(3, .L_ZL14no_device_codePKciS0_iS0_.num_vgpr)
	.set _ZL9mul_mat_fIfLi32ELi3ELi6ELb1EEvPKT_PKfPKiPfiiiiiiiiiiiiiiii.num_agpr, max(0, .L_ZL14no_device_codePKciS0_iS0_.num_agpr)
	.set _ZL9mul_mat_fIfLi32ELi3ELi6ELb1EEvPKT_PKfPKiPfiiiiiiiiiiiiiiii.numbered_sgpr, max(33, .L_ZL14no_device_codePKciS0_iS0_.numbered_sgpr)
	.set _ZL9mul_mat_fIfLi32ELi3ELi6ELb1EEvPKT_PKfPKiPfiiiiiiiiiiiiiiii.num_named_barrier, max(0, .L_ZL14no_device_codePKciS0_iS0_.num_named_barrier)
	.set _ZL9mul_mat_fIfLi32ELi3ELi6ELb1EEvPKT_PKfPKiPfiiiiiiiiiiiiiiii.private_seg_size, 0+max(.L_ZL14no_device_codePKciS0_iS0_.private_seg_size)
	.set _ZL9mul_mat_fIfLi32ELi3ELi6ELb1EEvPKT_PKfPKiPfiiiiiiiiiiiiiiii.uses_vcc, or(1, .L_ZL14no_device_codePKciS0_iS0_.uses_vcc)
	.set _ZL9mul_mat_fIfLi32ELi3ELi6ELb1EEvPKT_PKfPKiPfiiiiiiiiiiiiiiii.uses_flat_scratch, or(0, .L_ZL14no_device_codePKciS0_iS0_.uses_flat_scratch)
	.set _ZL9mul_mat_fIfLi32ELi3ELi6ELb1EEvPKT_PKfPKiPfiiiiiiiiiiiiiiii.has_dyn_sized_stack, or(0, .L_ZL14no_device_codePKciS0_iS0_.has_dyn_sized_stack)
	.set _ZL9mul_mat_fIfLi32ELi3ELi6ELb1EEvPKT_PKfPKiPfiiiiiiiiiiiiiiii.has_recursion, or(0, .L_ZL14no_device_codePKciS0_iS0_.has_recursion)
	.set _ZL9mul_mat_fIfLi32ELi3ELi6ELb1EEvPKT_PKfPKiPfiiiiiiiiiiiiiiii.has_indirect_call, or(0, .L_ZL14no_device_codePKciS0_iS0_.has_indirect_call)
	.section	.AMDGPU.csdata,"",@progbits
; Kernel info:
; codeLenInByte = 84
; TotalNumSgprs: 38
; NumVgprs: 38
; ScratchSize: 16
; MemoryBound: 0
; FloatMode: 240
; IeeeMode: 1
; LDSByteSize: 0 bytes/workgroup (compile time only)
; SGPRBlocks: 4
; VGPRBlocks: 9
; NumSGPRsForWavesPerEU: 38
; NumVGPRsForWavesPerEU: 38
; Occupancy: 6
; WaveLimiterHint : 1
; COMPUTE_PGM_RSRC2:SCRATCH_EN: 1
; COMPUTE_PGM_RSRC2:USER_SGPR: 6
; COMPUTE_PGM_RSRC2:TRAP_HANDLER: 0
; COMPUTE_PGM_RSRC2:TGID_X_EN: 1
; COMPUTE_PGM_RSRC2:TGID_Y_EN: 0
; COMPUTE_PGM_RSRC2:TGID_Z_EN: 0
; COMPUTE_PGM_RSRC2:TIDIG_COMP_CNT: 0
	.section	.text._ZL9mul_mat_fIfLi32ELi3ELi6ELb0EEvPKT_PKfPKiPfiiiiiiiiiiiiiiii,"axG",@progbits,_ZL9mul_mat_fIfLi32ELi3ELi6ELb0EEvPKT_PKfPKiPfiiiiiiiiiiiiiiii,comdat
	.globl	_ZL9mul_mat_fIfLi32ELi3ELi6ELb0EEvPKT_PKfPKiPfiiiiiiiiiiiiiiii ; -- Begin function _ZL9mul_mat_fIfLi32ELi3ELi6ELb0EEvPKT_PKfPKiPfiiiiiiiiiiiiiiii
	.p2align	8
	.type	_ZL9mul_mat_fIfLi32ELi3ELi6ELb0EEvPKT_PKfPKiPfiiiiiiiiiiiiiiii,@function
_ZL9mul_mat_fIfLi32ELi3ELi6ELb0EEvPKT_PKfPKiPfiiiiiiiiiiiiiiii: ; @_ZL9mul_mat_fIfLi32ELi3ELi6ELb0EEvPKT_PKfPKiPfiiiiiiiiiiiiiiii
; %bb.0:
	s_add_u32 s0, s0, s7
	s_addc_u32 s1, s1, 0
	s_add_u32 s8, s4, 0x60
	s_addc_u32 s9, s5, 0
	s_getpc_b64 s[4:5]
	s_add_u32 s4, s4, __FUNCTION__._ZL9mul_mat_fIfLi32ELi3ELi1ELb1EEvPKT_PKfPKiPfiiiiiiiiiiiiiiii@rel32@lo+4
	s_addc_u32 s5, s5, __FUNCTION__._ZL9mul_mat_fIfLi32ELi3ELi1ELb1EEvPKT_PKfPKiPfiiiiiiiiiiiiiiii@rel32@hi+12
	s_getpc_b64 s[6:7]
	s_add_u32 s6, s6, _ZL14no_device_codePKciS0_iS0_@rel32@lo+4
	s_addc_u32 s7, s7, _ZL14no_device_codePKciS0_iS0_@rel32@hi+12
	v_mov_b32_e32 v0, 0x124
	v_mov_b32_e32 v1, s4
	;; [unrolled: 1-line block ×3, first 2 shown]
	s_mov_b32 s32, 0
	s_swappc_b64 s[30:31], s[6:7]
	.section	.rodata,"a",@progbits
	.p2align	6, 0x0
	.amdhsa_kernel _ZL9mul_mat_fIfLi32ELi3ELi6ELb0EEvPKT_PKfPKiPfiiiiiiiiiiiiiiii
		.amdhsa_group_segment_fixed_size 0
		.amdhsa_private_segment_fixed_size 16
		.amdhsa_kernarg_size 352
		.amdhsa_user_sgpr_count 6
		.amdhsa_user_sgpr_private_segment_buffer 1
		.amdhsa_user_sgpr_dispatch_ptr 0
		.amdhsa_user_sgpr_queue_ptr 0
		.amdhsa_user_sgpr_kernarg_segment_ptr 1
		.amdhsa_user_sgpr_dispatch_id 0
		.amdhsa_user_sgpr_flat_scratch_init 0
		.amdhsa_user_sgpr_private_segment_size 0
		.amdhsa_uses_dynamic_stack 0
		.amdhsa_system_sgpr_private_segment_wavefront_offset 1
		.amdhsa_system_sgpr_workgroup_id_x 1
		.amdhsa_system_sgpr_workgroup_id_y 0
		.amdhsa_system_sgpr_workgroup_id_z 0
		.amdhsa_system_sgpr_workgroup_info 0
		.amdhsa_system_vgpr_workitem_id 0
		.amdhsa_next_free_vgpr 38
		.amdhsa_next_free_sgpr 34
		.amdhsa_reserve_vcc 1
		.amdhsa_reserve_flat_scratch 0
		.amdhsa_float_round_mode_32 0
		.amdhsa_float_round_mode_16_64 0
		.amdhsa_float_denorm_mode_32 3
		.amdhsa_float_denorm_mode_16_64 3
		.amdhsa_dx10_clamp 1
		.amdhsa_ieee_mode 1
		.amdhsa_fp16_overflow 0
		.amdhsa_exception_fp_ieee_invalid_op 0
		.amdhsa_exception_fp_denorm_src 0
		.amdhsa_exception_fp_ieee_div_zero 0
		.amdhsa_exception_fp_ieee_overflow 0
		.amdhsa_exception_fp_ieee_underflow 0
		.amdhsa_exception_fp_ieee_inexact 0
		.amdhsa_exception_int_div_zero 0
	.end_amdhsa_kernel
	.section	.text._ZL9mul_mat_fIfLi32ELi3ELi6ELb0EEvPKT_PKfPKiPfiiiiiiiiiiiiiiii,"axG",@progbits,_ZL9mul_mat_fIfLi32ELi3ELi6ELb0EEvPKT_PKfPKiPfiiiiiiiiiiiiiiii,comdat
.Lfunc_end20:
	.size	_ZL9mul_mat_fIfLi32ELi3ELi6ELb0EEvPKT_PKfPKiPfiiiiiiiiiiiiiiii, .Lfunc_end20-_ZL9mul_mat_fIfLi32ELi3ELi6ELb0EEvPKT_PKfPKiPfiiiiiiiiiiiiiiii
                                        ; -- End function
	.set _ZL9mul_mat_fIfLi32ELi3ELi6ELb0EEvPKT_PKfPKiPfiiiiiiiiiiiiiiii.num_vgpr, max(3, .L_ZL14no_device_codePKciS0_iS0_.num_vgpr)
	.set _ZL9mul_mat_fIfLi32ELi3ELi6ELb0EEvPKT_PKfPKiPfiiiiiiiiiiiiiiii.num_agpr, max(0, .L_ZL14no_device_codePKciS0_iS0_.num_agpr)
	.set _ZL9mul_mat_fIfLi32ELi3ELi6ELb0EEvPKT_PKfPKiPfiiiiiiiiiiiiiiii.numbered_sgpr, max(33, .L_ZL14no_device_codePKciS0_iS0_.numbered_sgpr)
	.set _ZL9mul_mat_fIfLi32ELi3ELi6ELb0EEvPKT_PKfPKiPfiiiiiiiiiiiiiiii.num_named_barrier, max(0, .L_ZL14no_device_codePKciS0_iS0_.num_named_barrier)
	.set _ZL9mul_mat_fIfLi32ELi3ELi6ELb0EEvPKT_PKfPKiPfiiiiiiiiiiiiiiii.private_seg_size, 0+max(.L_ZL14no_device_codePKciS0_iS0_.private_seg_size)
	.set _ZL9mul_mat_fIfLi32ELi3ELi6ELb0EEvPKT_PKfPKiPfiiiiiiiiiiiiiiii.uses_vcc, or(1, .L_ZL14no_device_codePKciS0_iS0_.uses_vcc)
	.set _ZL9mul_mat_fIfLi32ELi3ELi6ELb0EEvPKT_PKfPKiPfiiiiiiiiiiiiiiii.uses_flat_scratch, or(0, .L_ZL14no_device_codePKciS0_iS0_.uses_flat_scratch)
	.set _ZL9mul_mat_fIfLi32ELi3ELi6ELb0EEvPKT_PKfPKiPfiiiiiiiiiiiiiiii.has_dyn_sized_stack, or(0, .L_ZL14no_device_codePKciS0_iS0_.has_dyn_sized_stack)
	.set _ZL9mul_mat_fIfLi32ELi3ELi6ELb0EEvPKT_PKfPKiPfiiiiiiiiiiiiiiii.has_recursion, or(0, .L_ZL14no_device_codePKciS0_iS0_.has_recursion)
	.set _ZL9mul_mat_fIfLi32ELi3ELi6ELb0EEvPKT_PKfPKiPfiiiiiiiiiiiiiiii.has_indirect_call, or(0, .L_ZL14no_device_codePKciS0_iS0_.has_indirect_call)
	.section	.AMDGPU.csdata,"",@progbits
; Kernel info:
; codeLenInByte = 84
; TotalNumSgprs: 38
; NumVgprs: 38
; ScratchSize: 16
; MemoryBound: 0
; FloatMode: 240
; IeeeMode: 1
; LDSByteSize: 0 bytes/workgroup (compile time only)
; SGPRBlocks: 4
; VGPRBlocks: 9
; NumSGPRsForWavesPerEU: 38
; NumVGPRsForWavesPerEU: 38
; Occupancy: 6
; WaveLimiterHint : 1
; COMPUTE_PGM_RSRC2:SCRATCH_EN: 1
; COMPUTE_PGM_RSRC2:USER_SGPR: 6
; COMPUTE_PGM_RSRC2:TRAP_HANDLER: 0
; COMPUTE_PGM_RSRC2:TGID_X_EN: 1
; COMPUTE_PGM_RSRC2:TGID_Y_EN: 0
; COMPUTE_PGM_RSRC2:TGID_Z_EN: 0
; COMPUTE_PGM_RSRC2:TIDIG_COMP_CNT: 0
	.section	.text._ZL13mul_mat_f_idsIfLi32ELi3ELi7EEvPKT_PKfPKiS6_S6_Pfiiiiiiiiiiiiii15HIP_vector_typeIjLj3EES9_,"axG",@progbits,_ZL13mul_mat_f_idsIfLi32ELi3ELi7EEvPKT_PKfPKiS6_S6_Pfiiiiiiiiiiiiii15HIP_vector_typeIjLj3EES9_,comdat
	.globl	_ZL13mul_mat_f_idsIfLi32ELi3ELi7EEvPKT_PKfPKiS6_S6_Pfiiiiiiiiiiiiii15HIP_vector_typeIjLj3EES9_ ; -- Begin function _ZL13mul_mat_f_idsIfLi32ELi3ELi7EEvPKT_PKfPKiS6_S6_Pfiiiiiiiiiiiiii15HIP_vector_typeIjLj3EES9_
	.p2align	8
	.type	_ZL13mul_mat_f_idsIfLi32ELi3ELi7EEvPKT_PKfPKiS6_S6_Pfiiiiiiiiiiiiii15HIP_vector_typeIjLj3EES9_,@function
_ZL13mul_mat_f_idsIfLi32ELi3ELi7EEvPKT_PKfPKiS6_S6_Pfiiiiiiiiiiiiii15HIP_vector_typeIjLj3EES9_: ; @_ZL13mul_mat_f_idsIfLi32ELi3ELi7EEvPKT_PKfPKiS6_S6_Pfiiiiiiiiiiiiii15HIP_vector_typeIjLj3EES9_
; %bb.0:
	s_add_u32 s0, s0, s7
	s_addc_u32 s1, s1, 0
	s_add_u32 s8, s4, 0x80
	s_addc_u32 s9, s5, 0
	s_getpc_b64 s[4:5]
	s_add_u32 s4, s4, __FUNCTION__._ZL13mul_mat_f_idsIfLi32ELi3ELi1EEvPKT_PKfPKiS6_S6_Pfiiiiiiiiiiiiii15HIP_vector_typeIjLj3EES9_@rel32@lo+4
	s_addc_u32 s5, s5, __FUNCTION__._ZL13mul_mat_f_idsIfLi32ELi3ELi1EEvPKT_PKfPKiS6_S6_Pfiiiiiiiiiiiiii15HIP_vector_typeIjLj3EES9_@rel32@hi+12
	s_getpc_b64 s[6:7]
	s_add_u32 s6, s6, _ZL14no_device_codePKciS0_iS0_@rel32@lo+4
	s_addc_u32 s7, s7, _ZL14no_device_codePKciS0_iS0_@rel32@hi+12
	v_mov_b32_e32 v0, 0x238
	v_mov_b32_e32 v1, s4
	;; [unrolled: 1-line block ×3, first 2 shown]
	s_mov_b32 s32, 0
	s_swappc_b64 s[30:31], s[6:7]
	.section	.rodata,"a",@progbits
	.p2align	6, 0x0
	.amdhsa_kernel _ZL13mul_mat_f_idsIfLi32ELi3ELi7EEvPKT_PKfPKiS6_S6_Pfiiiiiiiiiiiiii15HIP_vector_typeIjLj3EES9_
		.amdhsa_group_segment_fixed_size 0
		.amdhsa_private_segment_fixed_size 16
		.amdhsa_kernarg_size 384
		.amdhsa_user_sgpr_count 6
		.amdhsa_user_sgpr_private_segment_buffer 1
		.amdhsa_user_sgpr_dispatch_ptr 0
		.amdhsa_user_sgpr_queue_ptr 0
		.amdhsa_user_sgpr_kernarg_segment_ptr 1
		.amdhsa_user_sgpr_dispatch_id 0
		.amdhsa_user_sgpr_flat_scratch_init 0
		.amdhsa_user_sgpr_private_segment_size 0
		.amdhsa_uses_dynamic_stack 0
		.amdhsa_system_sgpr_private_segment_wavefront_offset 1
		.amdhsa_system_sgpr_workgroup_id_x 1
		.amdhsa_system_sgpr_workgroup_id_y 0
		.amdhsa_system_sgpr_workgroup_id_z 0
		.amdhsa_system_sgpr_workgroup_info 0
		.amdhsa_system_vgpr_workitem_id 0
		.amdhsa_next_free_vgpr 38
		.amdhsa_next_free_sgpr 34
		.amdhsa_reserve_vcc 1
		.amdhsa_reserve_flat_scratch 0
		.amdhsa_float_round_mode_32 0
		.amdhsa_float_round_mode_16_64 0
		.amdhsa_float_denorm_mode_32 3
		.amdhsa_float_denorm_mode_16_64 3
		.amdhsa_dx10_clamp 1
		.amdhsa_ieee_mode 1
		.amdhsa_fp16_overflow 0
		.amdhsa_exception_fp_ieee_invalid_op 0
		.amdhsa_exception_fp_denorm_src 0
		.amdhsa_exception_fp_ieee_div_zero 0
		.amdhsa_exception_fp_ieee_overflow 0
		.amdhsa_exception_fp_ieee_underflow 0
		.amdhsa_exception_fp_ieee_inexact 0
		.amdhsa_exception_int_div_zero 0
	.end_amdhsa_kernel
	.section	.text._ZL13mul_mat_f_idsIfLi32ELi3ELi7EEvPKT_PKfPKiS6_S6_Pfiiiiiiiiiiiiii15HIP_vector_typeIjLj3EES9_,"axG",@progbits,_ZL13mul_mat_f_idsIfLi32ELi3ELi7EEvPKT_PKfPKiS6_S6_Pfiiiiiiiiiiiiii15HIP_vector_typeIjLj3EES9_,comdat
.Lfunc_end21:
	.size	_ZL13mul_mat_f_idsIfLi32ELi3ELi7EEvPKT_PKfPKiS6_S6_Pfiiiiiiiiiiiiii15HIP_vector_typeIjLj3EES9_, .Lfunc_end21-_ZL13mul_mat_f_idsIfLi32ELi3ELi7EEvPKT_PKfPKiS6_S6_Pfiiiiiiiiiiiiii15HIP_vector_typeIjLj3EES9_
                                        ; -- End function
	.set _ZL13mul_mat_f_idsIfLi32ELi3ELi7EEvPKT_PKfPKiS6_S6_Pfiiiiiiiiiiiiii15HIP_vector_typeIjLj3EES9_.num_vgpr, max(3, .L_ZL14no_device_codePKciS0_iS0_.num_vgpr)
	.set _ZL13mul_mat_f_idsIfLi32ELi3ELi7EEvPKT_PKfPKiS6_S6_Pfiiiiiiiiiiiiii15HIP_vector_typeIjLj3EES9_.num_agpr, max(0, .L_ZL14no_device_codePKciS0_iS0_.num_agpr)
	.set _ZL13mul_mat_f_idsIfLi32ELi3ELi7EEvPKT_PKfPKiS6_S6_Pfiiiiiiiiiiiiii15HIP_vector_typeIjLj3EES9_.numbered_sgpr, max(33, .L_ZL14no_device_codePKciS0_iS0_.numbered_sgpr)
	.set _ZL13mul_mat_f_idsIfLi32ELi3ELi7EEvPKT_PKfPKiS6_S6_Pfiiiiiiiiiiiiii15HIP_vector_typeIjLj3EES9_.num_named_barrier, max(0, .L_ZL14no_device_codePKciS0_iS0_.num_named_barrier)
	.set _ZL13mul_mat_f_idsIfLi32ELi3ELi7EEvPKT_PKfPKiS6_S6_Pfiiiiiiiiiiiiii15HIP_vector_typeIjLj3EES9_.private_seg_size, 0+max(.L_ZL14no_device_codePKciS0_iS0_.private_seg_size)
	.set _ZL13mul_mat_f_idsIfLi32ELi3ELi7EEvPKT_PKfPKiS6_S6_Pfiiiiiiiiiiiiii15HIP_vector_typeIjLj3EES9_.uses_vcc, or(1, .L_ZL14no_device_codePKciS0_iS0_.uses_vcc)
	.set _ZL13mul_mat_f_idsIfLi32ELi3ELi7EEvPKT_PKfPKiS6_S6_Pfiiiiiiiiiiiiii15HIP_vector_typeIjLj3EES9_.uses_flat_scratch, or(0, .L_ZL14no_device_codePKciS0_iS0_.uses_flat_scratch)
	.set _ZL13mul_mat_f_idsIfLi32ELi3ELi7EEvPKT_PKfPKiS6_S6_Pfiiiiiiiiiiiiii15HIP_vector_typeIjLj3EES9_.has_dyn_sized_stack, or(0, .L_ZL14no_device_codePKciS0_iS0_.has_dyn_sized_stack)
	.set _ZL13mul_mat_f_idsIfLi32ELi3ELi7EEvPKT_PKfPKiS6_S6_Pfiiiiiiiiiiiiii15HIP_vector_typeIjLj3EES9_.has_recursion, or(0, .L_ZL14no_device_codePKciS0_iS0_.has_recursion)
	.set _ZL13mul_mat_f_idsIfLi32ELi3ELi7EEvPKT_PKfPKiS6_S6_Pfiiiiiiiiiiiiii15HIP_vector_typeIjLj3EES9_.has_indirect_call, or(0, .L_ZL14no_device_codePKciS0_iS0_.has_indirect_call)
	.section	.AMDGPU.csdata,"",@progbits
; Kernel info:
; codeLenInByte = 84
; TotalNumSgprs: 38
; NumVgprs: 38
; ScratchSize: 16
; MemoryBound: 0
; FloatMode: 240
; IeeeMode: 1
; LDSByteSize: 0 bytes/workgroup (compile time only)
; SGPRBlocks: 4
; VGPRBlocks: 9
; NumSGPRsForWavesPerEU: 38
; NumVGPRsForWavesPerEU: 38
; Occupancy: 6
; WaveLimiterHint : 1
; COMPUTE_PGM_RSRC2:SCRATCH_EN: 1
; COMPUTE_PGM_RSRC2:USER_SGPR: 6
; COMPUTE_PGM_RSRC2:TRAP_HANDLER: 0
; COMPUTE_PGM_RSRC2:TGID_X_EN: 1
; COMPUTE_PGM_RSRC2:TGID_Y_EN: 0
; COMPUTE_PGM_RSRC2:TGID_Z_EN: 0
; COMPUTE_PGM_RSRC2:TIDIG_COMP_CNT: 0
	.section	.text._ZL9mul_mat_fIfLi32ELi3ELi7ELb1EEvPKT_PKfPKiPfiiiiiiiiiiiiiiii,"axG",@progbits,_ZL9mul_mat_fIfLi32ELi3ELi7ELb1EEvPKT_PKfPKiPfiiiiiiiiiiiiiiii,comdat
	.globl	_ZL9mul_mat_fIfLi32ELi3ELi7ELb1EEvPKT_PKfPKiPfiiiiiiiiiiiiiiii ; -- Begin function _ZL9mul_mat_fIfLi32ELi3ELi7ELb1EEvPKT_PKfPKiPfiiiiiiiiiiiiiiii
	.p2align	8
	.type	_ZL9mul_mat_fIfLi32ELi3ELi7ELb1EEvPKT_PKfPKiPfiiiiiiiiiiiiiiii,@function
_ZL9mul_mat_fIfLi32ELi3ELi7ELb1EEvPKT_PKfPKiPfiiiiiiiiiiiiiiii: ; @_ZL9mul_mat_fIfLi32ELi3ELi7ELb1EEvPKT_PKfPKiPfiiiiiiiiiiiiiiii
; %bb.0:
	s_add_u32 s0, s0, s7
	s_addc_u32 s1, s1, 0
	s_add_u32 s8, s4, 0x60
	s_addc_u32 s9, s5, 0
	s_getpc_b64 s[4:5]
	s_add_u32 s4, s4, __FUNCTION__._ZL9mul_mat_fIfLi32ELi3ELi1ELb1EEvPKT_PKfPKiPfiiiiiiiiiiiiiiii@rel32@lo+4
	s_addc_u32 s5, s5, __FUNCTION__._ZL9mul_mat_fIfLi32ELi3ELi1ELb1EEvPKT_PKfPKiPfiiiiiiiiiiiiiiii@rel32@hi+12
	s_getpc_b64 s[6:7]
	s_add_u32 s6, s6, _ZL14no_device_codePKciS0_iS0_@rel32@lo+4
	s_addc_u32 s7, s7, _ZL14no_device_codePKciS0_iS0_@rel32@hi+12
	v_mov_b32_e32 v0, 0x124
	v_mov_b32_e32 v1, s4
	;; [unrolled: 1-line block ×3, first 2 shown]
	s_mov_b32 s32, 0
	s_swappc_b64 s[30:31], s[6:7]
	.section	.rodata,"a",@progbits
	.p2align	6, 0x0
	.amdhsa_kernel _ZL9mul_mat_fIfLi32ELi3ELi7ELb1EEvPKT_PKfPKiPfiiiiiiiiiiiiiiii
		.amdhsa_group_segment_fixed_size 0
		.amdhsa_private_segment_fixed_size 16
		.amdhsa_kernarg_size 352
		.amdhsa_user_sgpr_count 6
		.amdhsa_user_sgpr_private_segment_buffer 1
		.amdhsa_user_sgpr_dispatch_ptr 0
		.amdhsa_user_sgpr_queue_ptr 0
		.amdhsa_user_sgpr_kernarg_segment_ptr 1
		.amdhsa_user_sgpr_dispatch_id 0
		.amdhsa_user_sgpr_flat_scratch_init 0
		.amdhsa_user_sgpr_private_segment_size 0
		.amdhsa_uses_dynamic_stack 0
		.amdhsa_system_sgpr_private_segment_wavefront_offset 1
		.amdhsa_system_sgpr_workgroup_id_x 1
		.amdhsa_system_sgpr_workgroup_id_y 0
		.amdhsa_system_sgpr_workgroup_id_z 0
		.amdhsa_system_sgpr_workgroup_info 0
		.amdhsa_system_vgpr_workitem_id 0
		.amdhsa_next_free_vgpr 38
		.amdhsa_next_free_sgpr 34
		.amdhsa_reserve_vcc 1
		.amdhsa_reserve_flat_scratch 0
		.amdhsa_float_round_mode_32 0
		.amdhsa_float_round_mode_16_64 0
		.amdhsa_float_denorm_mode_32 3
		.amdhsa_float_denorm_mode_16_64 3
		.amdhsa_dx10_clamp 1
		.amdhsa_ieee_mode 1
		.amdhsa_fp16_overflow 0
		.amdhsa_exception_fp_ieee_invalid_op 0
		.amdhsa_exception_fp_denorm_src 0
		.amdhsa_exception_fp_ieee_div_zero 0
		.amdhsa_exception_fp_ieee_overflow 0
		.amdhsa_exception_fp_ieee_underflow 0
		.amdhsa_exception_fp_ieee_inexact 0
		.amdhsa_exception_int_div_zero 0
	.end_amdhsa_kernel
	.section	.text._ZL9mul_mat_fIfLi32ELi3ELi7ELb1EEvPKT_PKfPKiPfiiiiiiiiiiiiiiii,"axG",@progbits,_ZL9mul_mat_fIfLi32ELi3ELi7ELb1EEvPKT_PKfPKiPfiiiiiiiiiiiiiiii,comdat
.Lfunc_end22:
	.size	_ZL9mul_mat_fIfLi32ELi3ELi7ELb1EEvPKT_PKfPKiPfiiiiiiiiiiiiiiii, .Lfunc_end22-_ZL9mul_mat_fIfLi32ELi3ELi7ELb1EEvPKT_PKfPKiPfiiiiiiiiiiiiiiii
                                        ; -- End function
	.set _ZL9mul_mat_fIfLi32ELi3ELi7ELb1EEvPKT_PKfPKiPfiiiiiiiiiiiiiiii.num_vgpr, max(3, .L_ZL14no_device_codePKciS0_iS0_.num_vgpr)
	.set _ZL9mul_mat_fIfLi32ELi3ELi7ELb1EEvPKT_PKfPKiPfiiiiiiiiiiiiiiii.num_agpr, max(0, .L_ZL14no_device_codePKciS0_iS0_.num_agpr)
	.set _ZL9mul_mat_fIfLi32ELi3ELi7ELb1EEvPKT_PKfPKiPfiiiiiiiiiiiiiiii.numbered_sgpr, max(33, .L_ZL14no_device_codePKciS0_iS0_.numbered_sgpr)
	.set _ZL9mul_mat_fIfLi32ELi3ELi7ELb1EEvPKT_PKfPKiPfiiiiiiiiiiiiiiii.num_named_barrier, max(0, .L_ZL14no_device_codePKciS0_iS0_.num_named_barrier)
	.set _ZL9mul_mat_fIfLi32ELi3ELi7ELb1EEvPKT_PKfPKiPfiiiiiiiiiiiiiiii.private_seg_size, 0+max(.L_ZL14no_device_codePKciS0_iS0_.private_seg_size)
	.set _ZL9mul_mat_fIfLi32ELi3ELi7ELb1EEvPKT_PKfPKiPfiiiiiiiiiiiiiiii.uses_vcc, or(1, .L_ZL14no_device_codePKciS0_iS0_.uses_vcc)
	.set _ZL9mul_mat_fIfLi32ELi3ELi7ELb1EEvPKT_PKfPKiPfiiiiiiiiiiiiiiii.uses_flat_scratch, or(0, .L_ZL14no_device_codePKciS0_iS0_.uses_flat_scratch)
	.set _ZL9mul_mat_fIfLi32ELi3ELi7ELb1EEvPKT_PKfPKiPfiiiiiiiiiiiiiiii.has_dyn_sized_stack, or(0, .L_ZL14no_device_codePKciS0_iS0_.has_dyn_sized_stack)
	.set _ZL9mul_mat_fIfLi32ELi3ELi7ELb1EEvPKT_PKfPKiPfiiiiiiiiiiiiiiii.has_recursion, or(0, .L_ZL14no_device_codePKciS0_iS0_.has_recursion)
	.set _ZL9mul_mat_fIfLi32ELi3ELi7ELb1EEvPKT_PKfPKiPfiiiiiiiiiiiiiiii.has_indirect_call, or(0, .L_ZL14no_device_codePKciS0_iS0_.has_indirect_call)
	.section	.AMDGPU.csdata,"",@progbits
; Kernel info:
; codeLenInByte = 84
; TotalNumSgprs: 38
; NumVgprs: 38
; ScratchSize: 16
; MemoryBound: 0
; FloatMode: 240
; IeeeMode: 1
; LDSByteSize: 0 bytes/workgroup (compile time only)
; SGPRBlocks: 4
; VGPRBlocks: 9
; NumSGPRsForWavesPerEU: 38
; NumVGPRsForWavesPerEU: 38
; Occupancy: 6
; WaveLimiterHint : 1
; COMPUTE_PGM_RSRC2:SCRATCH_EN: 1
; COMPUTE_PGM_RSRC2:USER_SGPR: 6
; COMPUTE_PGM_RSRC2:TRAP_HANDLER: 0
; COMPUTE_PGM_RSRC2:TGID_X_EN: 1
; COMPUTE_PGM_RSRC2:TGID_Y_EN: 0
; COMPUTE_PGM_RSRC2:TGID_Z_EN: 0
; COMPUTE_PGM_RSRC2:TIDIG_COMP_CNT: 0
	.section	.text._ZL9mul_mat_fIfLi32ELi3ELi7ELb0EEvPKT_PKfPKiPfiiiiiiiiiiiiiiii,"axG",@progbits,_ZL9mul_mat_fIfLi32ELi3ELi7ELb0EEvPKT_PKfPKiPfiiiiiiiiiiiiiiii,comdat
	.globl	_ZL9mul_mat_fIfLi32ELi3ELi7ELb0EEvPKT_PKfPKiPfiiiiiiiiiiiiiiii ; -- Begin function _ZL9mul_mat_fIfLi32ELi3ELi7ELb0EEvPKT_PKfPKiPfiiiiiiiiiiiiiiii
	.p2align	8
	.type	_ZL9mul_mat_fIfLi32ELi3ELi7ELb0EEvPKT_PKfPKiPfiiiiiiiiiiiiiiii,@function
_ZL9mul_mat_fIfLi32ELi3ELi7ELb0EEvPKT_PKfPKiPfiiiiiiiiiiiiiiii: ; @_ZL9mul_mat_fIfLi32ELi3ELi7ELb0EEvPKT_PKfPKiPfiiiiiiiiiiiiiiii
; %bb.0:
	s_add_u32 s0, s0, s7
	s_addc_u32 s1, s1, 0
	s_add_u32 s8, s4, 0x60
	s_addc_u32 s9, s5, 0
	s_getpc_b64 s[4:5]
	s_add_u32 s4, s4, __FUNCTION__._ZL9mul_mat_fIfLi32ELi3ELi1ELb1EEvPKT_PKfPKiPfiiiiiiiiiiiiiiii@rel32@lo+4
	s_addc_u32 s5, s5, __FUNCTION__._ZL9mul_mat_fIfLi32ELi3ELi1ELb1EEvPKT_PKfPKiPfiiiiiiiiiiiiiiii@rel32@hi+12
	s_getpc_b64 s[6:7]
	s_add_u32 s6, s6, _ZL14no_device_codePKciS0_iS0_@rel32@lo+4
	s_addc_u32 s7, s7, _ZL14no_device_codePKciS0_iS0_@rel32@hi+12
	v_mov_b32_e32 v0, 0x124
	v_mov_b32_e32 v1, s4
	;; [unrolled: 1-line block ×3, first 2 shown]
	s_mov_b32 s32, 0
	s_swappc_b64 s[30:31], s[6:7]
	.section	.rodata,"a",@progbits
	.p2align	6, 0x0
	.amdhsa_kernel _ZL9mul_mat_fIfLi32ELi3ELi7ELb0EEvPKT_PKfPKiPfiiiiiiiiiiiiiiii
		.amdhsa_group_segment_fixed_size 0
		.amdhsa_private_segment_fixed_size 16
		.amdhsa_kernarg_size 352
		.amdhsa_user_sgpr_count 6
		.amdhsa_user_sgpr_private_segment_buffer 1
		.amdhsa_user_sgpr_dispatch_ptr 0
		.amdhsa_user_sgpr_queue_ptr 0
		.amdhsa_user_sgpr_kernarg_segment_ptr 1
		.amdhsa_user_sgpr_dispatch_id 0
		.amdhsa_user_sgpr_flat_scratch_init 0
		.amdhsa_user_sgpr_private_segment_size 0
		.amdhsa_uses_dynamic_stack 0
		.amdhsa_system_sgpr_private_segment_wavefront_offset 1
		.amdhsa_system_sgpr_workgroup_id_x 1
		.amdhsa_system_sgpr_workgroup_id_y 0
		.amdhsa_system_sgpr_workgroup_id_z 0
		.amdhsa_system_sgpr_workgroup_info 0
		.amdhsa_system_vgpr_workitem_id 0
		.amdhsa_next_free_vgpr 38
		.amdhsa_next_free_sgpr 34
		.amdhsa_reserve_vcc 1
		.amdhsa_reserve_flat_scratch 0
		.amdhsa_float_round_mode_32 0
		.amdhsa_float_round_mode_16_64 0
		.amdhsa_float_denorm_mode_32 3
		.amdhsa_float_denorm_mode_16_64 3
		.amdhsa_dx10_clamp 1
		.amdhsa_ieee_mode 1
		.amdhsa_fp16_overflow 0
		.amdhsa_exception_fp_ieee_invalid_op 0
		.amdhsa_exception_fp_denorm_src 0
		.amdhsa_exception_fp_ieee_div_zero 0
		.amdhsa_exception_fp_ieee_overflow 0
		.amdhsa_exception_fp_ieee_underflow 0
		.amdhsa_exception_fp_ieee_inexact 0
		.amdhsa_exception_int_div_zero 0
	.end_amdhsa_kernel
	.section	.text._ZL9mul_mat_fIfLi32ELi3ELi7ELb0EEvPKT_PKfPKiPfiiiiiiiiiiiiiiii,"axG",@progbits,_ZL9mul_mat_fIfLi32ELi3ELi7ELb0EEvPKT_PKfPKiPfiiiiiiiiiiiiiiii,comdat
.Lfunc_end23:
	.size	_ZL9mul_mat_fIfLi32ELi3ELi7ELb0EEvPKT_PKfPKiPfiiiiiiiiiiiiiiii, .Lfunc_end23-_ZL9mul_mat_fIfLi32ELi3ELi7ELb0EEvPKT_PKfPKiPfiiiiiiiiiiiiiiii
                                        ; -- End function
	.set _ZL9mul_mat_fIfLi32ELi3ELi7ELb0EEvPKT_PKfPKiPfiiiiiiiiiiiiiiii.num_vgpr, max(3, .L_ZL14no_device_codePKciS0_iS0_.num_vgpr)
	.set _ZL9mul_mat_fIfLi32ELi3ELi7ELb0EEvPKT_PKfPKiPfiiiiiiiiiiiiiiii.num_agpr, max(0, .L_ZL14no_device_codePKciS0_iS0_.num_agpr)
	.set _ZL9mul_mat_fIfLi32ELi3ELi7ELb0EEvPKT_PKfPKiPfiiiiiiiiiiiiiiii.numbered_sgpr, max(33, .L_ZL14no_device_codePKciS0_iS0_.numbered_sgpr)
	.set _ZL9mul_mat_fIfLi32ELi3ELi7ELb0EEvPKT_PKfPKiPfiiiiiiiiiiiiiiii.num_named_barrier, max(0, .L_ZL14no_device_codePKciS0_iS0_.num_named_barrier)
	.set _ZL9mul_mat_fIfLi32ELi3ELi7ELb0EEvPKT_PKfPKiPfiiiiiiiiiiiiiiii.private_seg_size, 0+max(.L_ZL14no_device_codePKciS0_iS0_.private_seg_size)
	.set _ZL9mul_mat_fIfLi32ELi3ELi7ELb0EEvPKT_PKfPKiPfiiiiiiiiiiiiiiii.uses_vcc, or(1, .L_ZL14no_device_codePKciS0_iS0_.uses_vcc)
	.set _ZL9mul_mat_fIfLi32ELi3ELi7ELb0EEvPKT_PKfPKiPfiiiiiiiiiiiiiiii.uses_flat_scratch, or(0, .L_ZL14no_device_codePKciS0_iS0_.uses_flat_scratch)
	.set _ZL9mul_mat_fIfLi32ELi3ELi7ELb0EEvPKT_PKfPKiPfiiiiiiiiiiiiiiii.has_dyn_sized_stack, or(0, .L_ZL14no_device_codePKciS0_iS0_.has_dyn_sized_stack)
	.set _ZL9mul_mat_fIfLi32ELi3ELi7ELb0EEvPKT_PKfPKiPfiiiiiiiiiiiiiiii.has_recursion, or(0, .L_ZL14no_device_codePKciS0_iS0_.has_recursion)
	.set _ZL9mul_mat_fIfLi32ELi3ELi7ELb0EEvPKT_PKfPKiPfiiiiiiiiiiiiiiii.has_indirect_call, or(0, .L_ZL14no_device_codePKciS0_iS0_.has_indirect_call)
	.section	.AMDGPU.csdata,"",@progbits
; Kernel info:
; codeLenInByte = 84
; TotalNumSgprs: 38
; NumVgprs: 38
; ScratchSize: 16
; MemoryBound: 0
; FloatMode: 240
; IeeeMode: 1
; LDSByteSize: 0 bytes/workgroup (compile time only)
; SGPRBlocks: 4
; VGPRBlocks: 9
; NumSGPRsForWavesPerEU: 38
; NumVGPRsForWavesPerEU: 38
; Occupancy: 6
; WaveLimiterHint : 1
; COMPUTE_PGM_RSRC2:SCRATCH_EN: 1
; COMPUTE_PGM_RSRC2:USER_SGPR: 6
; COMPUTE_PGM_RSRC2:TRAP_HANDLER: 0
; COMPUTE_PGM_RSRC2:TGID_X_EN: 1
; COMPUTE_PGM_RSRC2:TGID_Y_EN: 0
; COMPUTE_PGM_RSRC2:TGID_Z_EN: 0
; COMPUTE_PGM_RSRC2:TIDIG_COMP_CNT: 0
	.section	.text._ZL13mul_mat_f_idsIfLi32ELi3ELi8EEvPKT_PKfPKiS6_S6_Pfiiiiiiiiiiiiii15HIP_vector_typeIjLj3EES9_,"axG",@progbits,_ZL13mul_mat_f_idsIfLi32ELi3ELi8EEvPKT_PKfPKiS6_S6_Pfiiiiiiiiiiiiii15HIP_vector_typeIjLj3EES9_,comdat
	.globl	_ZL13mul_mat_f_idsIfLi32ELi3ELi8EEvPKT_PKfPKiS6_S6_Pfiiiiiiiiiiiiii15HIP_vector_typeIjLj3EES9_ ; -- Begin function _ZL13mul_mat_f_idsIfLi32ELi3ELi8EEvPKT_PKfPKiS6_S6_Pfiiiiiiiiiiiiii15HIP_vector_typeIjLj3EES9_
	.p2align	8
	.type	_ZL13mul_mat_f_idsIfLi32ELi3ELi8EEvPKT_PKfPKiS6_S6_Pfiiiiiiiiiiiiii15HIP_vector_typeIjLj3EES9_,@function
_ZL13mul_mat_f_idsIfLi32ELi3ELi8EEvPKT_PKfPKiS6_S6_Pfiiiiiiiiiiiiii15HIP_vector_typeIjLj3EES9_: ; @_ZL13mul_mat_f_idsIfLi32ELi3ELi8EEvPKT_PKfPKiS6_S6_Pfiiiiiiiiiiiiii15HIP_vector_typeIjLj3EES9_
; %bb.0:
	s_add_u32 s0, s0, s7
	s_addc_u32 s1, s1, 0
	s_add_u32 s8, s4, 0x80
	s_addc_u32 s9, s5, 0
	s_getpc_b64 s[4:5]
	s_add_u32 s4, s4, __FUNCTION__._ZL13mul_mat_f_idsIfLi32ELi3ELi1EEvPKT_PKfPKiS6_S6_Pfiiiiiiiiiiiiii15HIP_vector_typeIjLj3EES9_@rel32@lo+4
	s_addc_u32 s5, s5, __FUNCTION__._ZL13mul_mat_f_idsIfLi32ELi3ELi1EEvPKT_PKfPKiS6_S6_Pfiiiiiiiiiiiiii15HIP_vector_typeIjLj3EES9_@rel32@hi+12
	s_getpc_b64 s[6:7]
	s_add_u32 s6, s6, _ZL14no_device_codePKciS0_iS0_@rel32@lo+4
	s_addc_u32 s7, s7, _ZL14no_device_codePKciS0_iS0_@rel32@hi+12
	v_mov_b32_e32 v0, 0x238
	v_mov_b32_e32 v1, s4
	;; [unrolled: 1-line block ×3, first 2 shown]
	s_mov_b32 s32, 0
	s_swappc_b64 s[30:31], s[6:7]
	.section	.rodata,"a",@progbits
	.p2align	6, 0x0
	.amdhsa_kernel _ZL13mul_mat_f_idsIfLi32ELi3ELi8EEvPKT_PKfPKiS6_S6_Pfiiiiiiiiiiiiii15HIP_vector_typeIjLj3EES9_
		.amdhsa_group_segment_fixed_size 0
		.amdhsa_private_segment_fixed_size 16
		.amdhsa_kernarg_size 384
		.amdhsa_user_sgpr_count 6
		.amdhsa_user_sgpr_private_segment_buffer 1
		.amdhsa_user_sgpr_dispatch_ptr 0
		.amdhsa_user_sgpr_queue_ptr 0
		.amdhsa_user_sgpr_kernarg_segment_ptr 1
		.amdhsa_user_sgpr_dispatch_id 0
		.amdhsa_user_sgpr_flat_scratch_init 0
		.amdhsa_user_sgpr_private_segment_size 0
		.amdhsa_uses_dynamic_stack 0
		.amdhsa_system_sgpr_private_segment_wavefront_offset 1
		.amdhsa_system_sgpr_workgroup_id_x 1
		.amdhsa_system_sgpr_workgroup_id_y 0
		.amdhsa_system_sgpr_workgroup_id_z 0
		.amdhsa_system_sgpr_workgroup_info 0
		.amdhsa_system_vgpr_workitem_id 0
		.amdhsa_next_free_vgpr 38
		.amdhsa_next_free_sgpr 34
		.amdhsa_reserve_vcc 1
		.amdhsa_reserve_flat_scratch 0
		.amdhsa_float_round_mode_32 0
		.amdhsa_float_round_mode_16_64 0
		.amdhsa_float_denorm_mode_32 3
		.amdhsa_float_denorm_mode_16_64 3
		.amdhsa_dx10_clamp 1
		.amdhsa_ieee_mode 1
		.amdhsa_fp16_overflow 0
		.amdhsa_exception_fp_ieee_invalid_op 0
		.amdhsa_exception_fp_denorm_src 0
		.amdhsa_exception_fp_ieee_div_zero 0
		.amdhsa_exception_fp_ieee_overflow 0
		.amdhsa_exception_fp_ieee_underflow 0
		.amdhsa_exception_fp_ieee_inexact 0
		.amdhsa_exception_int_div_zero 0
	.end_amdhsa_kernel
	.section	.text._ZL13mul_mat_f_idsIfLi32ELi3ELi8EEvPKT_PKfPKiS6_S6_Pfiiiiiiiiiiiiii15HIP_vector_typeIjLj3EES9_,"axG",@progbits,_ZL13mul_mat_f_idsIfLi32ELi3ELi8EEvPKT_PKfPKiS6_S6_Pfiiiiiiiiiiiiii15HIP_vector_typeIjLj3EES9_,comdat
.Lfunc_end24:
	.size	_ZL13mul_mat_f_idsIfLi32ELi3ELi8EEvPKT_PKfPKiS6_S6_Pfiiiiiiiiiiiiii15HIP_vector_typeIjLj3EES9_, .Lfunc_end24-_ZL13mul_mat_f_idsIfLi32ELi3ELi8EEvPKT_PKfPKiS6_S6_Pfiiiiiiiiiiiiii15HIP_vector_typeIjLj3EES9_
                                        ; -- End function
	.set _ZL13mul_mat_f_idsIfLi32ELi3ELi8EEvPKT_PKfPKiS6_S6_Pfiiiiiiiiiiiiii15HIP_vector_typeIjLj3EES9_.num_vgpr, max(3, .L_ZL14no_device_codePKciS0_iS0_.num_vgpr)
	.set _ZL13mul_mat_f_idsIfLi32ELi3ELi8EEvPKT_PKfPKiS6_S6_Pfiiiiiiiiiiiiii15HIP_vector_typeIjLj3EES9_.num_agpr, max(0, .L_ZL14no_device_codePKciS0_iS0_.num_agpr)
	.set _ZL13mul_mat_f_idsIfLi32ELi3ELi8EEvPKT_PKfPKiS6_S6_Pfiiiiiiiiiiiiii15HIP_vector_typeIjLj3EES9_.numbered_sgpr, max(33, .L_ZL14no_device_codePKciS0_iS0_.numbered_sgpr)
	.set _ZL13mul_mat_f_idsIfLi32ELi3ELi8EEvPKT_PKfPKiS6_S6_Pfiiiiiiiiiiiiii15HIP_vector_typeIjLj3EES9_.num_named_barrier, max(0, .L_ZL14no_device_codePKciS0_iS0_.num_named_barrier)
	.set _ZL13mul_mat_f_idsIfLi32ELi3ELi8EEvPKT_PKfPKiS6_S6_Pfiiiiiiiiiiiiii15HIP_vector_typeIjLj3EES9_.private_seg_size, 0+max(.L_ZL14no_device_codePKciS0_iS0_.private_seg_size)
	.set _ZL13mul_mat_f_idsIfLi32ELi3ELi8EEvPKT_PKfPKiS6_S6_Pfiiiiiiiiiiiiii15HIP_vector_typeIjLj3EES9_.uses_vcc, or(1, .L_ZL14no_device_codePKciS0_iS0_.uses_vcc)
	.set _ZL13mul_mat_f_idsIfLi32ELi3ELi8EEvPKT_PKfPKiS6_S6_Pfiiiiiiiiiiiiii15HIP_vector_typeIjLj3EES9_.uses_flat_scratch, or(0, .L_ZL14no_device_codePKciS0_iS0_.uses_flat_scratch)
	.set _ZL13mul_mat_f_idsIfLi32ELi3ELi8EEvPKT_PKfPKiS6_S6_Pfiiiiiiiiiiiiii15HIP_vector_typeIjLj3EES9_.has_dyn_sized_stack, or(0, .L_ZL14no_device_codePKciS0_iS0_.has_dyn_sized_stack)
	.set _ZL13mul_mat_f_idsIfLi32ELi3ELi8EEvPKT_PKfPKiS6_S6_Pfiiiiiiiiiiiiii15HIP_vector_typeIjLj3EES9_.has_recursion, or(0, .L_ZL14no_device_codePKciS0_iS0_.has_recursion)
	.set _ZL13mul_mat_f_idsIfLi32ELi3ELi8EEvPKT_PKfPKiS6_S6_Pfiiiiiiiiiiiiii15HIP_vector_typeIjLj3EES9_.has_indirect_call, or(0, .L_ZL14no_device_codePKciS0_iS0_.has_indirect_call)
	.section	.AMDGPU.csdata,"",@progbits
; Kernel info:
; codeLenInByte = 84
; TotalNumSgprs: 38
; NumVgprs: 38
; ScratchSize: 16
; MemoryBound: 0
; FloatMode: 240
; IeeeMode: 1
; LDSByteSize: 0 bytes/workgroup (compile time only)
; SGPRBlocks: 4
; VGPRBlocks: 9
; NumSGPRsForWavesPerEU: 38
; NumVGPRsForWavesPerEU: 38
; Occupancy: 6
; WaveLimiterHint : 1
; COMPUTE_PGM_RSRC2:SCRATCH_EN: 1
; COMPUTE_PGM_RSRC2:USER_SGPR: 6
; COMPUTE_PGM_RSRC2:TRAP_HANDLER: 0
; COMPUTE_PGM_RSRC2:TGID_X_EN: 1
; COMPUTE_PGM_RSRC2:TGID_Y_EN: 0
; COMPUTE_PGM_RSRC2:TGID_Z_EN: 0
; COMPUTE_PGM_RSRC2:TIDIG_COMP_CNT: 0
	.section	.text._ZL9mul_mat_fIfLi32ELi3ELi8ELb1EEvPKT_PKfPKiPfiiiiiiiiiiiiiiii,"axG",@progbits,_ZL9mul_mat_fIfLi32ELi3ELi8ELb1EEvPKT_PKfPKiPfiiiiiiiiiiiiiiii,comdat
	.globl	_ZL9mul_mat_fIfLi32ELi3ELi8ELb1EEvPKT_PKfPKiPfiiiiiiiiiiiiiiii ; -- Begin function _ZL9mul_mat_fIfLi32ELi3ELi8ELb1EEvPKT_PKfPKiPfiiiiiiiiiiiiiiii
	.p2align	8
	.type	_ZL9mul_mat_fIfLi32ELi3ELi8ELb1EEvPKT_PKfPKiPfiiiiiiiiiiiiiiii,@function
_ZL9mul_mat_fIfLi32ELi3ELi8ELb1EEvPKT_PKfPKiPfiiiiiiiiiiiiiiii: ; @_ZL9mul_mat_fIfLi32ELi3ELi8ELb1EEvPKT_PKfPKiPfiiiiiiiiiiiiiiii
; %bb.0:
	s_add_u32 s0, s0, s7
	s_addc_u32 s1, s1, 0
	s_add_u32 s8, s4, 0x60
	s_addc_u32 s9, s5, 0
	s_getpc_b64 s[4:5]
	s_add_u32 s4, s4, __FUNCTION__._ZL9mul_mat_fIfLi32ELi3ELi1ELb1EEvPKT_PKfPKiPfiiiiiiiiiiiiiiii@rel32@lo+4
	s_addc_u32 s5, s5, __FUNCTION__._ZL9mul_mat_fIfLi32ELi3ELi1ELb1EEvPKT_PKfPKiPfiiiiiiiiiiiiiiii@rel32@hi+12
	s_getpc_b64 s[6:7]
	s_add_u32 s6, s6, _ZL14no_device_codePKciS0_iS0_@rel32@lo+4
	s_addc_u32 s7, s7, _ZL14no_device_codePKciS0_iS0_@rel32@hi+12
	v_mov_b32_e32 v0, 0x124
	v_mov_b32_e32 v1, s4
	;; [unrolled: 1-line block ×3, first 2 shown]
	s_mov_b32 s32, 0
	s_swappc_b64 s[30:31], s[6:7]
	.section	.rodata,"a",@progbits
	.p2align	6, 0x0
	.amdhsa_kernel _ZL9mul_mat_fIfLi32ELi3ELi8ELb1EEvPKT_PKfPKiPfiiiiiiiiiiiiiiii
		.amdhsa_group_segment_fixed_size 0
		.amdhsa_private_segment_fixed_size 16
		.amdhsa_kernarg_size 352
		.amdhsa_user_sgpr_count 6
		.amdhsa_user_sgpr_private_segment_buffer 1
		.amdhsa_user_sgpr_dispatch_ptr 0
		.amdhsa_user_sgpr_queue_ptr 0
		.amdhsa_user_sgpr_kernarg_segment_ptr 1
		.amdhsa_user_sgpr_dispatch_id 0
		.amdhsa_user_sgpr_flat_scratch_init 0
		.amdhsa_user_sgpr_private_segment_size 0
		.amdhsa_uses_dynamic_stack 0
		.amdhsa_system_sgpr_private_segment_wavefront_offset 1
		.amdhsa_system_sgpr_workgroup_id_x 1
		.amdhsa_system_sgpr_workgroup_id_y 0
		.amdhsa_system_sgpr_workgroup_id_z 0
		.amdhsa_system_sgpr_workgroup_info 0
		.amdhsa_system_vgpr_workitem_id 0
		.amdhsa_next_free_vgpr 38
		.amdhsa_next_free_sgpr 34
		.amdhsa_reserve_vcc 1
		.amdhsa_reserve_flat_scratch 0
		.amdhsa_float_round_mode_32 0
		.amdhsa_float_round_mode_16_64 0
		.amdhsa_float_denorm_mode_32 3
		.amdhsa_float_denorm_mode_16_64 3
		.amdhsa_dx10_clamp 1
		.amdhsa_ieee_mode 1
		.amdhsa_fp16_overflow 0
		.amdhsa_exception_fp_ieee_invalid_op 0
		.amdhsa_exception_fp_denorm_src 0
		.amdhsa_exception_fp_ieee_div_zero 0
		.amdhsa_exception_fp_ieee_overflow 0
		.amdhsa_exception_fp_ieee_underflow 0
		.amdhsa_exception_fp_ieee_inexact 0
		.amdhsa_exception_int_div_zero 0
	.end_amdhsa_kernel
	.section	.text._ZL9mul_mat_fIfLi32ELi3ELi8ELb1EEvPKT_PKfPKiPfiiiiiiiiiiiiiiii,"axG",@progbits,_ZL9mul_mat_fIfLi32ELi3ELi8ELb1EEvPKT_PKfPKiPfiiiiiiiiiiiiiiii,comdat
.Lfunc_end25:
	.size	_ZL9mul_mat_fIfLi32ELi3ELi8ELb1EEvPKT_PKfPKiPfiiiiiiiiiiiiiiii, .Lfunc_end25-_ZL9mul_mat_fIfLi32ELi3ELi8ELb1EEvPKT_PKfPKiPfiiiiiiiiiiiiiiii
                                        ; -- End function
	.set _ZL9mul_mat_fIfLi32ELi3ELi8ELb1EEvPKT_PKfPKiPfiiiiiiiiiiiiiiii.num_vgpr, max(3, .L_ZL14no_device_codePKciS0_iS0_.num_vgpr)
	.set _ZL9mul_mat_fIfLi32ELi3ELi8ELb1EEvPKT_PKfPKiPfiiiiiiiiiiiiiiii.num_agpr, max(0, .L_ZL14no_device_codePKciS0_iS0_.num_agpr)
	.set _ZL9mul_mat_fIfLi32ELi3ELi8ELb1EEvPKT_PKfPKiPfiiiiiiiiiiiiiiii.numbered_sgpr, max(33, .L_ZL14no_device_codePKciS0_iS0_.numbered_sgpr)
	.set _ZL9mul_mat_fIfLi32ELi3ELi8ELb1EEvPKT_PKfPKiPfiiiiiiiiiiiiiiii.num_named_barrier, max(0, .L_ZL14no_device_codePKciS0_iS0_.num_named_barrier)
	.set _ZL9mul_mat_fIfLi32ELi3ELi8ELb1EEvPKT_PKfPKiPfiiiiiiiiiiiiiiii.private_seg_size, 0+max(.L_ZL14no_device_codePKciS0_iS0_.private_seg_size)
	.set _ZL9mul_mat_fIfLi32ELi3ELi8ELb1EEvPKT_PKfPKiPfiiiiiiiiiiiiiiii.uses_vcc, or(1, .L_ZL14no_device_codePKciS0_iS0_.uses_vcc)
	.set _ZL9mul_mat_fIfLi32ELi3ELi8ELb1EEvPKT_PKfPKiPfiiiiiiiiiiiiiiii.uses_flat_scratch, or(0, .L_ZL14no_device_codePKciS0_iS0_.uses_flat_scratch)
	.set _ZL9mul_mat_fIfLi32ELi3ELi8ELb1EEvPKT_PKfPKiPfiiiiiiiiiiiiiiii.has_dyn_sized_stack, or(0, .L_ZL14no_device_codePKciS0_iS0_.has_dyn_sized_stack)
	.set _ZL9mul_mat_fIfLi32ELi3ELi8ELb1EEvPKT_PKfPKiPfiiiiiiiiiiiiiiii.has_recursion, or(0, .L_ZL14no_device_codePKciS0_iS0_.has_recursion)
	.set _ZL9mul_mat_fIfLi32ELi3ELi8ELb1EEvPKT_PKfPKiPfiiiiiiiiiiiiiiii.has_indirect_call, or(0, .L_ZL14no_device_codePKciS0_iS0_.has_indirect_call)
	.section	.AMDGPU.csdata,"",@progbits
; Kernel info:
; codeLenInByte = 84
; TotalNumSgprs: 38
; NumVgprs: 38
; ScratchSize: 16
; MemoryBound: 0
; FloatMode: 240
; IeeeMode: 1
; LDSByteSize: 0 bytes/workgroup (compile time only)
; SGPRBlocks: 4
; VGPRBlocks: 9
; NumSGPRsForWavesPerEU: 38
; NumVGPRsForWavesPerEU: 38
; Occupancy: 6
; WaveLimiterHint : 1
; COMPUTE_PGM_RSRC2:SCRATCH_EN: 1
; COMPUTE_PGM_RSRC2:USER_SGPR: 6
; COMPUTE_PGM_RSRC2:TRAP_HANDLER: 0
; COMPUTE_PGM_RSRC2:TGID_X_EN: 1
; COMPUTE_PGM_RSRC2:TGID_Y_EN: 0
; COMPUTE_PGM_RSRC2:TGID_Z_EN: 0
; COMPUTE_PGM_RSRC2:TIDIG_COMP_CNT: 0
	.section	.text._ZL9mul_mat_fIfLi32ELi3ELi8ELb0EEvPKT_PKfPKiPfiiiiiiiiiiiiiiii,"axG",@progbits,_ZL9mul_mat_fIfLi32ELi3ELi8ELb0EEvPKT_PKfPKiPfiiiiiiiiiiiiiiii,comdat
	.globl	_ZL9mul_mat_fIfLi32ELi3ELi8ELb0EEvPKT_PKfPKiPfiiiiiiiiiiiiiiii ; -- Begin function _ZL9mul_mat_fIfLi32ELi3ELi8ELb0EEvPKT_PKfPKiPfiiiiiiiiiiiiiiii
	.p2align	8
	.type	_ZL9mul_mat_fIfLi32ELi3ELi8ELb0EEvPKT_PKfPKiPfiiiiiiiiiiiiiiii,@function
_ZL9mul_mat_fIfLi32ELi3ELi8ELb0EEvPKT_PKfPKiPfiiiiiiiiiiiiiiii: ; @_ZL9mul_mat_fIfLi32ELi3ELi8ELb0EEvPKT_PKfPKiPfiiiiiiiiiiiiiiii
; %bb.0:
	s_add_u32 s0, s0, s7
	s_addc_u32 s1, s1, 0
	s_add_u32 s8, s4, 0x60
	s_addc_u32 s9, s5, 0
	s_getpc_b64 s[4:5]
	s_add_u32 s4, s4, __FUNCTION__._ZL9mul_mat_fIfLi32ELi3ELi1ELb1EEvPKT_PKfPKiPfiiiiiiiiiiiiiiii@rel32@lo+4
	s_addc_u32 s5, s5, __FUNCTION__._ZL9mul_mat_fIfLi32ELi3ELi1ELb1EEvPKT_PKfPKiPfiiiiiiiiiiiiiiii@rel32@hi+12
	s_getpc_b64 s[6:7]
	s_add_u32 s6, s6, _ZL14no_device_codePKciS0_iS0_@rel32@lo+4
	s_addc_u32 s7, s7, _ZL14no_device_codePKciS0_iS0_@rel32@hi+12
	v_mov_b32_e32 v0, 0x124
	v_mov_b32_e32 v1, s4
	;; [unrolled: 1-line block ×3, first 2 shown]
	s_mov_b32 s32, 0
	s_swappc_b64 s[30:31], s[6:7]
	.section	.rodata,"a",@progbits
	.p2align	6, 0x0
	.amdhsa_kernel _ZL9mul_mat_fIfLi32ELi3ELi8ELb0EEvPKT_PKfPKiPfiiiiiiiiiiiiiiii
		.amdhsa_group_segment_fixed_size 0
		.amdhsa_private_segment_fixed_size 16
		.amdhsa_kernarg_size 352
		.amdhsa_user_sgpr_count 6
		.amdhsa_user_sgpr_private_segment_buffer 1
		.amdhsa_user_sgpr_dispatch_ptr 0
		.amdhsa_user_sgpr_queue_ptr 0
		.amdhsa_user_sgpr_kernarg_segment_ptr 1
		.amdhsa_user_sgpr_dispatch_id 0
		.amdhsa_user_sgpr_flat_scratch_init 0
		.amdhsa_user_sgpr_private_segment_size 0
		.amdhsa_uses_dynamic_stack 0
		.amdhsa_system_sgpr_private_segment_wavefront_offset 1
		.amdhsa_system_sgpr_workgroup_id_x 1
		.amdhsa_system_sgpr_workgroup_id_y 0
		.amdhsa_system_sgpr_workgroup_id_z 0
		.amdhsa_system_sgpr_workgroup_info 0
		.amdhsa_system_vgpr_workitem_id 0
		.amdhsa_next_free_vgpr 38
		.amdhsa_next_free_sgpr 34
		.amdhsa_reserve_vcc 1
		.amdhsa_reserve_flat_scratch 0
		.amdhsa_float_round_mode_32 0
		.amdhsa_float_round_mode_16_64 0
		.amdhsa_float_denorm_mode_32 3
		.amdhsa_float_denorm_mode_16_64 3
		.amdhsa_dx10_clamp 1
		.amdhsa_ieee_mode 1
		.amdhsa_fp16_overflow 0
		.amdhsa_exception_fp_ieee_invalid_op 0
		.amdhsa_exception_fp_denorm_src 0
		.amdhsa_exception_fp_ieee_div_zero 0
		.amdhsa_exception_fp_ieee_overflow 0
		.amdhsa_exception_fp_ieee_underflow 0
		.amdhsa_exception_fp_ieee_inexact 0
		.amdhsa_exception_int_div_zero 0
	.end_amdhsa_kernel
	.section	.text._ZL9mul_mat_fIfLi32ELi3ELi8ELb0EEvPKT_PKfPKiPfiiiiiiiiiiiiiiii,"axG",@progbits,_ZL9mul_mat_fIfLi32ELi3ELi8ELb0EEvPKT_PKfPKiPfiiiiiiiiiiiiiiii,comdat
.Lfunc_end26:
	.size	_ZL9mul_mat_fIfLi32ELi3ELi8ELb0EEvPKT_PKfPKiPfiiiiiiiiiiiiiiii, .Lfunc_end26-_ZL9mul_mat_fIfLi32ELi3ELi8ELb0EEvPKT_PKfPKiPfiiiiiiiiiiiiiiii
                                        ; -- End function
	.set _ZL9mul_mat_fIfLi32ELi3ELi8ELb0EEvPKT_PKfPKiPfiiiiiiiiiiiiiiii.num_vgpr, max(3, .L_ZL14no_device_codePKciS0_iS0_.num_vgpr)
	.set _ZL9mul_mat_fIfLi32ELi3ELi8ELb0EEvPKT_PKfPKiPfiiiiiiiiiiiiiiii.num_agpr, max(0, .L_ZL14no_device_codePKciS0_iS0_.num_agpr)
	.set _ZL9mul_mat_fIfLi32ELi3ELi8ELb0EEvPKT_PKfPKiPfiiiiiiiiiiiiiiii.numbered_sgpr, max(33, .L_ZL14no_device_codePKciS0_iS0_.numbered_sgpr)
	.set _ZL9mul_mat_fIfLi32ELi3ELi8ELb0EEvPKT_PKfPKiPfiiiiiiiiiiiiiiii.num_named_barrier, max(0, .L_ZL14no_device_codePKciS0_iS0_.num_named_barrier)
	.set _ZL9mul_mat_fIfLi32ELi3ELi8ELb0EEvPKT_PKfPKiPfiiiiiiiiiiiiiiii.private_seg_size, 0+max(.L_ZL14no_device_codePKciS0_iS0_.private_seg_size)
	.set _ZL9mul_mat_fIfLi32ELi3ELi8ELb0EEvPKT_PKfPKiPfiiiiiiiiiiiiiiii.uses_vcc, or(1, .L_ZL14no_device_codePKciS0_iS0_.uses_vcc)
	.set _ZL9mul_mat_fIfLi32ELi3ELi8ELb0EEvPKT_PKfPKiPfiiiiiiiiiiiiiiii.uses_flat_scratch, or(0, .L_ZL14no_device_codePKciS0_iS0_.uses_flat_scratch)
	.set _ZL9mul_mat_fIfLi32ELi3ELi8ELb0EEvPKT_PKfPKiPfiiiiiiiiiiiiiiii.has_dyn_sized_stack, or(0, .L_ZL14no_device_codePKciS0_iS0_.has_dyn_sized_stack)
	.set _ZL9mul_mat_fIfLi32ELi3ELi8ELb0EEvPKT_PKfPKiPfiiiiiiiiiiiiiiii.has_recursion, or(0, .L_ZL14no_device_codePKciS0_iS0_.has_recursion)
	.set _ZL9mul_mat_fIfLi32ELi3ELi8ELb0EEvPKT_PKfPKiPfiiiiiiiiiiiiiiii.has_indirect_call, or(0, .L_ZL14no_device_codePKciS0_iS0_.has_indirect_call)
	.section	.AMDGPU.csdata,"",@progbits
; Kernel info:
; codeLenInByte = 84
; TotalNumSgprs: 38
; NumVgprs: 38
; ScratchSize: 16
; MemoryBound: 0
; FloatMode: 240
; IeeeMode: 1
; LDSByteSize: 0 bytes/workgroup (compile time only)
; SGPRBlocks: 4
; VGPRBlocks: 9
; NumSGPRsForWavesPerEU: 38
; NumVGPRsForWavesPerEU: 38
; Occupancy: 6
; WaveLimiterHint : 1
; COMPUTE_PGM_RSRC2:SCRATCH_EN: 1
; COMPUTE_PGM_RSRC2:USER_SGPR: 6
; COMPUTE_PGM_RSRC2:TRAP_HANDLER: 0
; COMPUTE_PGM_RSRC2:TGID_X_EN: 1
; COMPUTE_PGM_RSRC2:TGID_Y_EN: 0
; COMPUTE_PGM_RSRC2:TGID_Z_EN: 0
; COMPUTE_PGM_RSRC2:TIDIG_COMP_CNT: 0
	.section	.text._ZL13mul_mat_f_idsI7__half2Li32ELi3ELi1EEvPKT_PKfPKiS7_S7_Pfiiiiiiiiiiiiii15HIP_vector_typeIjLj3EESA_,"axG",@progbits,_ZL13mul_mat_f_idsI7__half2Li32ELi3ELi1EEvPKT_PKfPKiS7_S7_Pfiiiiiiiiiiiiii15HIP_vector_typeIjLj3EESA_,comdat
	.globl	_ZL13mul_mat_f_idsI7__half2Li32ELi3ELi1EEvPKT_PKfPKiS7_S7_Pfiiiiiiiiiiiiii15HIP_vector_typeIjLj3EESA_ ; -- Begin function _ZL13mul_mat_f_idsI7__half2Li32ELi3ELi1EEvPKT_PKfPKiS7_S7_Pfiiiiiiiiiiiiii15HIP_vector_typeIjLj3EESA_
	.p2align	8
	.type	_ZL13mul_mat_f_idsI7__half2Li32ELi3ELi1EEvPKT_PKfPKiS7_S7_Pfiiiiiiiiiiiiii15HIP_vector_typeIjLj3EESA_,@function
_ZL13mul_mat_f_idsI7__half2Li32ELi3ELi1EEvPKT_PKfPKiS7_S7_Pfiiiiiiiiiiiiii15HIP_vector_typeIjLj3EESA_: ; @_ZL13mul_mat_f_idsI7__half2Li32ELi3ELi1EEvPKT_PKfPKiS7_S7_Pfiiiiiiiiiiiiii15HIP_vector_typeIjLj3EESA_
; %bb.0:
	s_add_u32 s0, s0, s7
	s_addc_u32 s1, s1, 0
	s_add_u32 s8, s4, 0x80
	s_addc_u32 s9, s5, 0
	s_getpc_b64 s[4:5]
	s_add_u32 s4, s4, __FUNCTION__._ZL13mul_mat_f_idsIfLi32ELi3ELi1EEvPKT_PKfPKiS6_S6_Pfiiiiiiiiiiiiii15HIP_vector_typeIjLj3EES9_@rel32@lo+4
	s_addc_u32 s5, s5, __FUNCTION__._ZL13mul_mat_f_idsIfLi32ELi3ELi1EEvPKT_PKfPKiS6_S6_Pfiiiiiiiiiiiiii15HIP_vector_typeIjLj3EES9_@rel32@hi+12
	s_getpc_b64 s[6:7]
	s_add_u32 s6, s6, _ZL14no_device_codePKciS0_iS0_@rel32@lo+4
	s_addc_u32 s7, s7, _ZL14no_device_codePKciS0_iS0_@rel32@hi+12
	v_mov_b32_e32 v0, 0x238
	v_mov_b32_e32 v1, s4
	;; [unrolled: 1-line block ×3, first 2 shown]
	s_mov_b32 s32, 0
	s_swappc_b64 s[30:31], s[6:7]
	.section	.rodata,"a",@progbits
	.p2align	6, 0x0
	.amdhsa_kernel _ZL13mul_mat_f_idsI7__half2Li32ELi3ELi1EEvPKT_PKfPKiS7_S7_Pfiiiiiiiiiiiiii15HIP_vector_typeIjLj3EESA_
		.amdhsa_group_segment_fixed_size 0
		.amdhsa_private_segment_fixed_size 16
		.amdhsa_kernarg_size 384
		.amdhsa_user_sgpr_count 6
		.amdhsa_user_sgpr_private_segment_buffer 1
		.amdhsa_user_sgpr_dispatch_ptr 0
		.amdhsa_user_sgpr_queue_ptr 0
		.amdhsa_user_sgpr_kernarg_segment_ptr 1
		.amdhsa_user_sgpr_dispatch_id 0
		.amdhsa_user_sgpr_flat_scratch_init 0
		.amdhsa_user_sgpr_private_segment_size 0
		.amdhsa_uses_dynamic_stack 0
		.amdhsa_system_sgpr_private_segment_wavefront_offset 1
		.amdhsa_system_sgpr_workgroup_id_x 1
		.amdhsa_system_sgpr_workgroup_id_y 0
		.amdhsa_system_sgpr_workgroup_id_z 0
		.amdhsa_system_sgpr_workgroup_info 0
		.amdhsa_system_vgpr_workitem_id 0
		.amdhsa_next_free_vgpr 38
		.amdhsa_next_free_sgpr 34
		.amdhsa_reserve_vcc 1
		.amdhsa_reserve_flat_scratch 0
		.amdhsa_float_round_mode_32 0
		.amdhsa_float_round_mode_16_64 0
		.amdhsa_float_denorm_mode_32 3
		.amdhsa_float_denorm_mode_16_64 3
		.amdhsa_dx10_clamp 1
		.amdhsa_ieee_mode 1
		.amdhsa_fp16_overflow 0
		.amdhsa_exception_fp_ieee_invalid_op 0
		.amdhsa_exception_fp_denorm_src 0
		.amdhsa_exception_fp_ieee_div_zero 0
		.amdhsa_exception_fp_ieee_overflow 0
		.amdhsa_exception_fp_ieee_underflow 0
		.amdhsa_exception_fp_ieee_inexact 0
		.amdhsa_exception_int_div_zero 0
	.end_amdhsa_kernel
	.section	.text._ZL13mul_mat_f_idsI7__half2Li32ELi3ELi1EEvPKT_PKfPKiS7_S7_Pfiiiiiiiiiiiiii15HIP_vector_typeIjLj3EESA_,"axG",@progbits,_ZL13mul_mat_f_idsI7__half2Li32ELi3ELi1EEvPKT_PKfPKiS7_S7_Pfiiiiiiiiiiiiii15HIP_vector_typeIjLj3EESA_,comdat
.Lfunc_end27:
	.size	_ZL13mul_mat_f_idsI7__half2Li32ELi3ELi1EEvPKT_PKfPKiS7_S7_Pfiiiiiiiiiiiiii15HIP_vector_typeIjLj3EESA_, .Lfunc_end27-_ZL13mul_mat_f_idsI7__half2Li32ELi3ELi1EEvPKT_PKfPKiS7_S7_Pfiiiiiiiiiiiiii15HIP_vector_typeIjLj3EESA_
                                        ; -- End function
	.set _ZL13mul_mat_f_idsI7__half2Li32ELi3ELi1EEvPKT_PKfPKiS7_S7_Pfiiiiiiiiiiiiii15HIP_vector_typeIjLj3EESA_.num_vgpr, max(3, .L_ZL14no_device_codePKciS0_iS0_.num_vgpr)
	.set _ZL13mul_mat_f_idsI7__half2Li32ELi3ELi1EEvPKT_PKfPKiS7_S7_Pfiiiiiiiiiiiiii15HIP_vector_typeIjLj3EESA_.num_agpr, max(0, .L_ZL14no_device_codePKciS0_iS0_.num_agpr)
	.set _ZL13mul_mat_f_idsI7__half2Li32ELi3ELi1EEvPKT_PKfPKiS7_S7_Pfiiiiiiiiiiiiii15HIP_vector_typeIjLj3EESA_.numbered_sgpr, max(33, .L_ZL14no_device_codePKciS0_iS0_.numbered_sgpr)
	.set _ZL13mul_mat_f_idsI7__half2Li32ELi3ELi1EEvPKT_PKfPKiS7_S7_Pfiiiiiiiiiiiiii15HIP_vector_typeIjLj3EESA_.num_named_barrier, max(0, .L_ZL14no_device_codePKciS0_iS0_.num_named_barrier)
	.set _ZL13mul_mat_f_idsI7__half2Li32ELi3ELi1EEvPKT_PKfPKiS7_S7_Pfiiiiiiiiiiiiii15HIP_vector_typeIjLj3EESA_.private_seg_size, 0+max(.L_ZL14no_device_codePKciS0_iS0_.private_seg_size)
	.set _ZL13mul_mat_f_idsI7__half2Li32ELi3ELi1EEvPKT_PKfPKiS7_S7_Pfiiiiiiiiiiiiii15HIP_vector_typeIjLj3EESA_.uses_vcc, or(1, .L_ZL14no_device_codePKciS0_iS0_.uses_vcc)
	.set _ZL13mul_mat_f_idsI7__half2Li32ELi3ELi1EEvPKT_PKfPKiS7_S7_Pfiiiiiiiiiiiiii15HIP_vector_typeIjLj3EESA_.uses_flat_scratch, or(0, .L_ZL14no_device_codePKciS0_iS0_.uses_flat_scratch)
	.set _ZL13mul_mat_f_idsI7__half2Li32ELi3ELi1EEvPKT_PKfPKiS7_S7_Pfiiiiiiiiiiiiii15HIP_vector_typeIjLj3EESA_.has_dyn_sized_stack, or(0, .L_ZL14no_device_codePKciS0_iS0_.has_dyn_sized_stack)
	.set _ZL13mul_mat_f_idsI7__half2Li32ELi3ELi1EEvPKT_PKfPKiS7_S7_Pfiiiiiiiiiiiiii15HIP_vector_typeIjLj3EESA_.has_recursion, or(0, .L_ZL14no_device_codePKciS0_iS0_.has_recursion)
	.set _ZL13mul_mat_f_idsI7__half2Li32ELi3ELi1EEvPKT_PKfPKiS7_S7_Pfiiiiiiiiiiiiii15HIP_vector_typeIjLj3EESA_.has_indirect_call, or(0, .L_ZL14no_device_codePKciS0_iS0_.has_indirect_call)
	.section	.AMDGPU.csdata,"",@progbits
; Kernel info:
; codeLenInByte = 84
; TotalNumSgprs: 38
; NumVgprs: 38
; ScratchSize: 16
; MemoryBound: 0
; FloatMode: 240
; IeeeMode: 1
; LDSByteSize: 0 bytes/workgroup (compile time only)
; SGPRBlocks: 4
; VGPRBlocks: 9
; NumSGPRsForWavesPerEU: 38
; NumVGPRsForWavesPerEU: 38
; Occupancy: 6
; WaveLimiterHint : 1
; COMPUTE_PGM_RSRC2:SCRATCH_EN: 1
; COMPUTE_PGM_RSRC2:USER_SGPR: 6
; COMPUTE_PGM_RSRC2:TRAP_HANDLER: 0
; COMPUTE_PGM_RSRC2:TGID_X_EN: 1
; COMPUTE_PGM_RSRC2:TGID_Y_EN: 0
; COMPUTE_PGM_RSRC2:TGID_Z_EN: 0
; COMPUTE_PGM_RSRC2:TIDIG_COMP_CNT: 0
	.section	.text._ZL9mul_mat_fI7__half2Li32ELi3ELi1ELb1EEvPKT_PKfPKiPfiiiiiiiiiiiiiiii,"axG",@progbits,_ZL9mul_mat_fI7__half2Li32ELi3ELi1ELb1EEvPKT_PKfPKiPfiiiiiiiiiiiiiiii,comdat
	.globl	_ZL9mul_mat_fI7__half2Li32ELi3ELi1ELb1EEvPKT_PKfPKiPfiiiiiiiiiiiiiiii ; -- Begin function _ZL9mul_mat_fI7__half2Li32ELi3ELi1ELb1EEvPKT_PKfPKiPfiiiiiiiiiiiiiiii
	.p2align	8
	.type	_ZL9mul_mat_fI7__half2Li32ELi3ELi1ELb1EEvPKT_PKfPKiPfiiiiiiiiiiiiiiii,@function
_ZL9mul_mat_fI7__half2Li32ELi3ELi1ELb1EEvPKT_PKfPKiPfiiiiiiiiiiiiiiii: ; @_ZL9mul_mat_fI7__half2Li32ELi3ELi1ELb1EEvPKT_PKfPKiPfiiiiiiiiiiiiiiii
; %bb.0:
	s_add_u32 s0, s0, s7
	s_addc_u32 s1, s1, 0
	s_add_u32 s8, s4, 0x60
	s_addc_u32 s9, s5, 0
	s_getpc_b64 s[4:5]
	s_add_u32 s4, s4, __FUNCTION__._ZL9mul_mat_fIfLi32ELi3ELi1ELb1EEvPKT_PKfPKiPfiiiiiiiiiiiiiiii@rel32@lo+4
	s_addc_u32 s5, s5, __FUNCTION__._ZL9mul_mat_fIfLi32ELi3ELi1ELb1EEvPKT_PKfPKiPfiiiiiiiiiiiiiiii@rel32@hi+12
	s_getpc_b64 s[6:7]
	s_add_u32 s6, s6, _ZL14no_device_codePKciS0_iS0_@rel32@lo+4
	s_addc_u32 s7, s7, _ZL14no_device_codePKciS0_iS0_@rel32@hi+12
	v_mov_b32_e32 v0, 0x124
	v_mov_b32_e32 v1, s4
	;; [unrolled: 1-line block ×3, first 2 shown]
	s_mov_b32 s32, 0
	s_swappc_b64 s[30:31], s[6:7]
	.section	.rodata,"a",@progbits
	.p2align	6, 0x0
	.amdhsa_kernel _ZL9mul_mat_fI7__half2Li32ELi3ELi1ELb1EEvPKT_PKfPKiPfiiiiiiiiiiiiiiii
		.amdhsa_group_segment_fixed_size 0
		.amdhsa_private_segment_fixed_size 16
		.amdhsa_kernarg_size 352
		.amdhsa_user_sgpr_count 6
		.amdhsa_user_sgpr_private_segment_buffer 1
		.amdhsa_user_sgpr_dispatch_ptr 0
		.amdhsa_user_sgpr_queue_ptr 0
		.amdhsa_user_sgpr_kernarg_segment_ptr 1
		.amdhsa_user_sgpr_dispatch_id 0
		.amdhsa_user_sgpr_flat_scratch_init 0
		.amdhsa_user_sgpr_private_segment_size 0
		.amdhsa_uses_dynamic_stack 0
		.amdhsa_system_sgpr_private_segment_wavefront_offset 1
		.amdhsa_system_sgpr_workgroup_id_x 1
		.amdhsa_system_sgpr_workgroup_id_y 0
		.amdhsa_system_sgpr_workgroup_id_z 0
		.amdhsa_system_sgpr_workgroup_info 0
		.amdhsa_system_vgpr_workitem_id 0
		.amdhsa_next_free_vgpr 38
		.amdhsa_next_free_sgpr 34
		.amdhsa_reserve_vcc 1
		.amdhsa_reserve_flat_scratch 0
		.amdhsa_float_round_mode_32 0
		.amdhsa_float_round_mode_16_64 0
		.amdhsa_float_denorm_mode_32 3
		.amdhsa_float_denorm_mode_16_64 3
		.amdhsa_dx10_clamp 1
		.amdhsa_ieee_mode 1
		.amdhsa_fp16_overflow 0
		.amdhsa_exception_fp_ieee_invalid_op 0
		.amdhsa_exception_fp_denorm_src 0
		.amdhsa_exception_fp_ieee_div_zero 0
		.amdhsa_exception_fp_ieee_overflow 0
		.amdhsa_exception_fp_ieee_underflow 0
		.amdhsa_exception_fp_ieee_inexact 0
		.amdhsa_exception_int_div_zero 0
	.end_amdhsa_kernel
	.section	.text._ZL9mul_mat_fI7__half2Li32ELi3ELi1ELb1EEvPKT_PKfPKiPfiiiiiiiiiiiiiiii,"axG",@progbits,_ZL9mul_mat_fI7__half2Li32ELi3ELi1ELb1EEvPKT_PKfPKiPfiiiiiiiiiiiiiiii,comdat
.Lfunc_end28:
	.size	_ZL9mul_mat_fI7__half2Li32ELi3ELi1ELb1EEvPKT_PKfPKiPfiiiiiiiiiiiiiiii, .Lfunc_end28-_ZL9mul_mat_fI7__half2Li32ELi3ELi1ELb1EEvPKT_PKfPKiPfiiiiiiiiiiiiiiii
                                        ; -- End function
	.set _ZL9mul_mat_fI7__half2Li32ELi3ELi1ELb1EEvPKT_PKfPKiPfiiiiiiiiiiiiiiii.num_vgpr, max(3, .L_ZL14no_device_codePKciS0_iS0_.num_vgpr)
	.set _ZL9mul_mat_fI7__half2Li32ELi3ELi1ELb1EEvPKT_PKfPKiPfiiiiiiiiiiiiiiii.num_agpr, max(0, .L_ZL14no_device_codePKciS0_iS0_.num_agpr)
	.set _ZL9mul_mat_fI7__half2Li32ELi3ELi1ELb1EEvPKT_PKfPKiPfiiiiiiiiiiiiiiii.numbered_sgpr, max(33, .L_ZL14no_device_codePKciS0_iS0_.numbered_sgpr)
	.set _ZL9mul_mat_fI7__half2Li32ELi3ELi1ELb1EEvPKT_PKfPKiPfiiiiiiiiiiiiiiii.num_named_barrier, max(0, .L_ZL14no_device_codePKciS0_iS0_.num_named_barrier)
	.set _ZL9mul_mat_fI7__half2Li32ELi3ELi1ELb1EEvPKT_PKfPKiPfiiiiiiiiiiiiiiii.private_seg_size, 0+max(.L_ZL14no_device_codePKciS0_iS0_.private_seg_size)
	.set _ZL9mul_mat_fI7__half2Li32ELi3ELi1ELb1EEvPKT_PKfPKiPfiiiiiiiiiiiiiiii.uses_vcc, or(1, .L_ZL14no_device_codePKciS0_iS0_.uses_vcc)
	.set _ZL9mul_mat_fI7__half2Li32ELi3ELi1ELb1EEvPKT_PKfPKiPfiiiiiiiiiiiiiiii.uses_flat_scratch, or(0, .L_ZL14no_device_codePKciS0_iS0_.uses_flat_scratch)
	.set _ZL9mul_mat_fI7__half2Li32ELi3ELi1ELb1EEvPKT_PKfPKiPfiiiiiiiiiiiiiiii.has_dyn_sized_stack, or(0, .L_ZL14no_device_codePKciS0_iS0_.has_dyn_sized_stack)
	.set _ZL9mul_mat_fI7__half2Li32ELi3ELi1ELb1EEvPKT_PKfPKiPfiiiiiiiiiiiiiiii.has_recursion, or(0, .L_ZL14no_device_codePKciS0_iS0_.has_recursion)
	.set _ZL9mul_mat_fI7__half2Li32ELi3ELi1ELb1EEvPKT_PKfPKiPfiiiiiiiiiiiiiiii.has_indirect_call, or(0, .L_ZL14no_device_codePKciS0_iS0_.has_indirect_call)
	.section	.AMDGPU.csdata,"",@progbits
; Kernel info:
; codeLenInByte = 84
; TotalNumSgprs: 38
; NumVgprs: 38
; ScratchSize: 16
; MemoryBound: 0
; FloatMode: 240
; IeeeMode: 1
; LDSByteSize: 0 bytes/workgroup (compile time only)
; SGPRBlocks: 4
; VGPRBlocks: 9
; NumSGPRsForWavesPerEU: 38
; NumVGPRsForWavesPerEU: 38
; Occupancy: 6
; WaveLimiterHint : 1
; COMPUTE_PGM_RSRC2:SCRATCH_EN: 1
; COMPUTE_PGM_RSRC2:USER_SGPR: 6
; COMPUTE_PGM_RSRC2:TRAP_HANDLER: 0
; COMPUTE_PGM_RSRC2:TGID_X_EN: 1
; COMPUTE_PGM_RSRC2:TGID_Y_EN: 0
; COMPUTE_PGM_RSRC2:TGID_Z_EN: 0
; COMPUTE_PGM_RSRC2:TIDIG_COMP_CNT: 0
	.section	.text._ZL9mul_mat_fI7__half2Li32ELi3ELi1ELb0EEvPKT_PKfPKiPfiiiiiiiiiiiiiiii,"axG",@progbits,_ZL9mul_mat_fI7__half2Li32ELi3ELi1ELb0EEvPKT_PKfPKiPfiiiiiiiiiiiiiiii,comdat
	.globl	_ZL9mul_mat_fI7__half2Li32ELi3ELi1ELb0EEvPKT_PKfPKiPfiiiiiiiiiiiiiiii ; -- Begin function _ZL9mul_mat_fI7__half2Li32ELi3ELi1ELb0EEvPKT_PKfPKiPfiiiiiiiiiiiiiiii
	.p2align	8
	.type	_ZL9mul_mat_fI7__half2Li32ELi3ELi1ELb0EEvPKT_PKfPKiPfiiiiiiiiiiiiiiii,@function
_ZL9mul_mat_fI7__half2Li32ELi3ELi1ELb0EEvPKT_PKfPKiPfiiiiiiiiiiiiiiii: ; @_ZL9mul_mat_fI7__half2Li32ELi3ELi1ELb0EEvPKT_PKfPKiPfiiiiiiiiiiiiiiii
; %bb.0:
	s_add_u32 s0, s0, s7
	s_addc_u32 s1, s1, 0
	s_add_u32 s8, s4, 0x60
	s_addc_u32 s9, s5, 0
	s_getpc_b64 s[4:5]
	s_add_u32 s4, s4, __FUNCTION__._ZL9mul_mat_fIfLi32ELi3ELi1ELb1EEvPKT_PKfPKiPfiiiiiiiiiiiiiiii@rel32@lo+4
	s_addc_u32 s5, s5, __FUNCTION__._ZL9mul_mat_fIfLi32ELi3ELi1ELb1EEvPKT_PKfPKiPfiiiiiiiiiiiiiiii@rel32@hi+12
	s_getpc_b64 s[6:7]
	s_add_u32 s6, s6, _ZL14no_device_codePKciS0_iS0_@rel32@lo+4
	s_addc_u32 s7, s7, _ZL14no_device_codePKciS0_iS0_@rel32@hi+12
	v_mov_b32_e32 v0, 0x124
	v_mov_b32_e32 v1, s4
	;; [unrolled: 1-line block ×3, first 2 shown]
	s_mov_b32 s32, 0
	s_swappc_b64 s[30:31], s[6:7]
	.section	.rodata,"a",@progbits
	.p2align	6, 0x0
	.amdhsa_kernel _ZL9mul_mat_fI7__half2Li32ELi3ELi1ELb0EEvPKT_PKfPKiPfiiiiiiiiiiiiiiii
		.amdhsa_group_segment_fixed_size 0
		.amdhsa_private_segment_fixed_size 16
		.amdhsa_kernarg_size 352
		.amdhsa_user_sgpr_count 6
		.amdhsa_user_sgpr_private_segment_buffer 1
		.amdhsa_user_sgpr_dispatch_ptr 0
		.amdhsa_user_sgpr_queue_ptr 0
		.amdhsa_user_sgpr_kernarg_segment_ptr 1
		.amdhsa_user_sgpr_dispatch_id 0
		.amdhsa_user_sgpr_flat_scratch_init 0
		.amdhsa_user_sgpr_private_segment_size 0
		.amdhsa_uses_dynamic_stack 0
		.amdhsa_system_sgpr_private_segment_wavefront_offset 1
		.amdhsa_system_sgpr_workgroup_id_x 1
		.amdhsa_system_sgpr_workgroup_id_y 0
		.amdhsa_system_sgpr_workgroup_id_z 0
		.amdhsa_system_sgpr_workgroup_info 0
		.amdhsa_system_vgpr_workitem_id 0
		.amdhsa_next_free_vgpr 38
		.amdhsa_next_free_sgpr 34
		.amdhsa_reserve_vcc 1
		.amdhsa_reserve_flat_scratch 0
		.amdhsa_float_round_mode_32 0
		.amdhsa_float_round_mode_16_64 0
		.amdhsa_float_denorm_mode_32 3
		.amdhsa_float_denorm_mode_16_64 3
		.amdhsa_dx10_clamp 1
		.amdhsa_ieee_mode 1
		.amdhsa_fp16_overflow 0
		.amdhsa_exception_fp_ieee_invalid_op 0
		.amdhsa_exception_fp_denorm_src 0
		.amdhsa_exception_fp_ieee_div_zero 0
		.amdhsa_exception_fp_ieee_overflow 0
		.amdhsa_exception_fp_ieee_underflow 0
		.amdhsa_exception_fp_ieee_inexact 0
		.amdhsa_exception_int_div_zero 0
	.end_amdhsa_kernel
	.section	.text._ZL9mul_mat_fI7__half2Li32ELi3ELi1ELb0EEvPKT_PKfPKiPfiiiiiiiiiiiiiiii,"axG",@progbits,_ZL9mul_mat_fI7__half2Li32ELi3ELi1ELb0EEvPKT_PKfPKiPfiiiiiiiiiiiiiiii,comdat
.Lfunc_end29:
	.size	_ZL9mul_mat_fI7__half2Li32ELi3ELi1ELb0EEvPKT_PKfPKiPfiiiiiiiiiiiiiiii, .Lfunc_end29-_ZL9mul_mat_fI7__half2Li32ELi3ELi1ELb0EEvPKT_PKfPKiPfiiiiiiiiiiiiiiii
                                        ; -- End function
	.set _ZL9mul_mat_fI7__half2Li32ELi3ELi1ELb0EEvPKT_PKfPKiPfiiiiiiiiiiiiiiii.num_vgpr, max(3, .L_ZL14no_device_codePKciS0_iS0_.num_vgpr)
	.set _ZL9mul_mat_fI7__half2Li32ELi3ELi1ELb0EEvPKT_PKfPKiPfiiiiiiiiiiiiiiii.num_agpr, max(0, .L_ZL14no_device_codePKciS0_iS0_.num_agpr)
	.set _ZL9mul_mat_fI7__half2Li32ELi3ELi1ELb0EEvPKT_PKfPKiPfiiiiiiiiiiiiiiii.numbered_sgpr, max(33, .L_ZL14no_device_codePKciS0_iS0_.numbered_sgpr)
	.set _ZL9mul_mat_fI7__half2Li32ELi3ELi1ELb0EEvPKT_PKfPKiPfiiiiiiiiiiiiiiii.num_named_barrier, max(0, .L_ZL14no_device_codePKciS0_iS0_.num_named_barrier)
	.set _ZL9mul_mat_fI7__half2Li32ELi3ELi1ELb0EEvPKT_PKfPKiPfiiiiiiiiiiiiiiii.private_seg_size, 0+max(.L_ZL14no_device_codePKciS0_iS0_.private_seg_size)
	.set _ZL9mul_mat_fI7__half2Li32ELi3ELi1ELb0EEvPKT_PKfPKiPfiiiiiiiiiiiiiiii.uses_vcc, or(1, .L_ZL14no_device_codePKciS0_iS0_.uses_vcc)
	.set _ZL9mul_mat_fI7__half2Li32ELi3ELi1ELb0EEvPKT_PKfPKiPfiiiiiiiiiiiiiiii.uses_flat_scratch, or(0, .L_ZL14no_device_codePKciS0_iS0_.uses_flat_scratch)
	.set _ZL9mul_mat_fI7__half2Li32ELi3ELi1ELb0EEvPKT_PKfPKiPfiiiiiiiiiiiiiiii.has_dyn_sized_stack, or(0, .L_ZL14no_device_codePKciS0_iS0_.has_dyn_sized_stack)
	.set _ZL9mul_mat_fI7__half2Li32ELi3ELi1ELb0EEvPKT_PKfPKiPfiiiiiiiiiiiiiiii.has_recursion, or(0, .L_ZL14no_device_codePKciS0_iS0_.has_recursion)
	.set _ZL9mul_mat_fI7__half2Li32ELi3ELi1ELb0EEvPKT_PKfPKiPfiiiiiiiiiiiiiiii.has_indirect_call, or(0, .L_ZL14no_device_codePKciS0_iS0_.has_indirect_call)
	.section	.AMDGPU.csdata,"",@progbits
; Kernel info:
; codeLenInByte = 84
; TotalNumSgprs: 38
; NumVgprs: 38
; ScratchSize: 16
; MemoryBound: 0
; FloatMode: 240
; IeeeMode: 1
; LDSByteSize: 0 bytes/workgroup (compile time only)
; SGPRBlocks: 4
; VGPRBlocks: 9
; NumSGPRsForWavesPerEU: 38
; NumVGPRsForWavesPerEU: 38
; Occupancy: 6
; WaveLimiterHint : 1
; COMPUTE_PGM_RSRC2:SCRATCH_EN: 1
; COMPUTE_PGM_RSRC2:USER_SGPR: 6
; COMPUTE_PGM_RSRC2:TRAP_HANDLER: 0
; COMPUTE_PGM_RSRC2:TGID_X_EN: 1
; COMPUTE_PGM_RSRC2:TGID_Y_EN: 0
; COMPUTE_PGM_RSRC2:TGID_Z_EN: 0
; COMPUTE_PGM_RSRC2:TIDIG_COMP_CNT: 0
	.section	.text._ZL13mul_mat_f_idsI7__half2Li32ELi3ELi2EEvPKT_PKfPKiS7_S7_Pfiiiiiiiiiiiiii15HIP_vector_typeIjLj3EESA_,"axG",@progbits,_ZL13mul_mat_f_idsI7__half2Li32ELi3ELi2EEvPKT_PKfPKiS7_S7_Pfiiiiiiiiiiiiii15HIP_vector_typeIjLj3EESA_,comdat
	.globl	_ZL13mul_mat_f_idsI7__half2Li32ELi3ELi2EEvPKT_PKfPKiS7_S7_Pfiiiiiiiiiiiiii15HIP_vector_typeIjLj3EESA_ ; -- Begin function _ZL13mul_mat_f_idsI7__half2Li32ELi3ELi2EEvPKT_PKfPKiS7_S7_Pfiiiiiiiiiiiiii15HIP_vector_typeIjLj3EESA_
	.p2align	8
	.type	_ZL13mul_mat_f_idsI7__half2Li32ELi3ELi2EEvPKT_PKfPKiS7_S7_Pfiiiiiiiiiiiiii15HIP_vector_typeIjLj3EESA_,@function
_ZL13mul_mat_f_idsI7__half2Li32ELi3ELi2EEvPKT_PKfPKiS7_S7_Pfiiiiiiiiiiiiii15HIP_vector_typeIjLj3EESA_: ; @_ZL13mul_mat_f_idsI7__half2Li32ELi3ELi2EEvPKT_PKfPKiS7_S7_Pfiiiiiiiiiiiiii15HIP_vector_typeIjLj3EESA_
; %bb.0:
	s_add_u32 s0, s0, s7
	s_addc_u32 s1, s1, 0
	s_add_u32 s8, s4, 0x80
	s_addc_u32 s9, s5, 0
	s_getpc_b64 s[4:5]
	s_add_u32 s4, s4, __FUNCTION__._ZL13mul_mat_f_idsIfLi32ELi3ELi1EEvPKT_PKfPKiS6_S6_Pfiiiiiiiiiiiiii15HIP_vector_typeIjLj3EES9_@rel32@lo+4
	s_addc_u32 s5, s5, __FUNCTION__._ZL13mul_mat_f_idsIfLi32ELi3ELi1EEvPKT_PKfPKiS6_S6_Pfiiiiiiiiiiiiii15HIP_vector_typeIjLj3EES9_@rel32@hi+12
	s_getpc_b64 s[6:7]
	s_add_u32 s6, s6, _ZL14no_device_codePKciS0_iS0_@rel32@lo+4
	s_addc_u32 s7, s7, _ZL14no_device_codePKciS0_iS0_@rel32@hi+12
	v_mov_b32_e32 v0, 0x238
	v_mov_b32_e32 v1, s4
	v_mov_b32_e32 v2, s5
	s_mov_b32 s32, 0
	s_swappc_b64 s[30:31], s[6:7]
	.section	.rodata,"a",@progbits
	.p2align	6, 0x0
	.amdhsa_kernel _ZL13mul_mat_f_idsI7__half2Li32ELi3ELi2EEvPKT_PKfPKiS7_S7_Pfiiiiiiiiiiiiii15HIP_vector_typeIjLj3EESA_
		.amdhsa_group_segment_fixed_size 0
		.amdhsa_private_segment_fixed_size 16
		.amdhsa_kernarg_size 384
		.amdhsa_user_sgpr_count 6
		.amdhsa_user_sgpr_private_segment_buffer 1
		.amdhsa_user_sgpr_dispatch_ptr 0
		.amdhsa_user_sgpr_queue_ptr 0
		.amdhsa_user_sgpr_kernarg_segment_ptr 1
		.amdhsa_user_sgpr_dispatch_id 0
		.amdhsa_user_sgpr_flat_scratch_init 0
		.amdhsa_user_sgpr_private_segment_size 0
		.amdhsa_uses_dynamic_stack 0
		.amdhsa_system_sgpr_private_segment_wavefront_offset 1
		.amdhsa_system_sgpr_workgroup_id_x 1
		.amdhsa_system_sgpr_workgroup_id_y 0
		.amdhsa_system_sgpr_workgroup_id_z 0
		.amdhsa_system_sgpr_workgroup_info 0
		.amdhsa_system_vgpr_workitem_id 0
		.amdhsa_next_free_vgpr 38
		.amdhsa_next_free_sgpr 34
		.amdhsa_reserve_vcc 1
		.amdhsa_reserve_flat_scratch 0
		.amdhsa_float_round_mode_32 0
		.amdhsa_float_round_mode_16_64 0
		.amdhsa_float_denorm_mode_32 3
		.amdhsa_float_denorm_mode_16_64 3
		.amdhsa_dx10_clamp 1
		.amdhsa_ieee_mode 1
		.amdhsa_fp16_overflow 0
		.amdhsa_exception_fp_ieee_invalid_op 0
		.amdhsa_exception_fp_denorm_src 0
		.amdhsa_exception_fp_ieee_div_zero 0
		.amdhsa_exception_fp_ieee_overflow 0
		.amdhsa_exception_fp_ieee_underflow 0
		.amdhsa_exception_fp_ieee_inexact 0
		.amdhsa_exception_int_div_zero 0
	.end_amdhsa_kernel
	.section	.text._ZL13mul_mat_f_idsI7__half2Li32ELi3ELi2EEvPKT_PKfPKiS7_S7_Pfiiiiiiiiiiiiii15HIP_vector_typeIjLj3EESA_,"axG",@progbits,_ZL13mul_mat_f_idsI7__half2Li32ELi3ELi2EEvPKT_PKfPKiS7_S7_Pfiiiiiiiiiiiiii15HIP_vector_typeIjLj3EESA_,comdat
.Lfunc_end30:
	.size	_ZL13mul_mat_f_idsI7__half2Li32ELi3ELi2EEvPKT_PKfPKiS7_S7_Pfiiiiiiiiiiiiii15HIP_vector_typeIjLj3EESA_, .Lfunc_end30-_ZL13mul_mat_f_idsI7__half2Li32ELi3ELi2EEvPKT_PKfPKiS7_S7_Pfiiiiiiiiiiiiii15HIP_vector_typeIjLj3EESA_
                                        ; -- End function
	.set _ZL13mul_mat_f_idsI7__half2Li32ELi3ELi2EEvPKT_PKfPKiS7_S7_Pfiiiiiiiiiiiiii15HIP_vector_typeIjLj3EESA_.num_vgpr, max(3, .L_ZL14no_device_codePKciS0_iS0_.num_vgpr)
	.set _ZL13mul_mat_f_idsI7__half2Li32ELi3ELi2EEvPKT_PKfPKiS7_S7_Pfiiiiiiiiiiiiii15HIP_vector_typeIjLj3EESA_.num_agpr, max(0, .L_ZL14no_device_codePKciS0_iS0_.num_agpr)
	.set _ZL13mul_mat_f_idsI7__half2Li32ELi3ELi2EEvPKT_PKfPKiS7_S7_Pfiiiiiiiiiiiiii15HIP_vector_typeIjLj3EESA_.numbered_sgpr, max(33, .L_ZL14no_device_codePKciS0_iS0_.numbered_sgpr)
	.set _ZL13mul_mat_f_idsI7__half2Li32ELi3ELi2EEvPKT_PKfPKiS7_S7_Pfiiiiiiiiiiiiii15HIP_vector_typeIjLj3EESA_.num_named_barrier, max(0, .L_ZL14no_device_codePKciS0_iS0_.num_named_barrier)
	.set _ZL13mul_mat_f_idsI7__half2Li32ELi3ELi2EEvPKT_PKfPKiS7_S7_Pfiiiiiiiiiiiiii15HIP_vector_typeIjLj3EESA_.private_seg_size, 0+max(.L_ZL14no_device_codePKciS0_iS0_.private_seg_size)
	.set _ZL13mul_mat_f_idsI7__half2Li32ELi3ELi2EEvPKT_PKfPKiS7_S7_Pfiiiiiiiiiiiiii15HIP_vector_typeIjLj3EESA_.uses_vcc, or(1, .L_ZL14no_device_codePKciS0_iS0_.uses_vcc)
	.set _ZL13mul_mat_f_idsI7__half2Li32ELi3ELi2EEvPKT_PKfPKiS7_S7_Pfiiiiiiiiiiiiii15HIP_vector_typeIjLj3EESA_.uses_flat_scratch, or(0, .L_ZL14no_device_codePKciS0_iS0_.uses_flat_scratch)
	.set _ZL13mul_mat_f_idsI7__half2Li32ELi3ELi2EEvPKT_PKfPKiS7_S7_Pfiiiiiiiiiiiiii15HIP_vector_typeIjLj3EESA_.has_dyn_sized_stack, or(0, .L_ZL14no_device_codePKciS0_iS0_.has_dyn_sized_stack)
	.set _ZL13mul_mat_f_idsI7__half2Li32ELi3ELi2EEvPKT_PKfPKiS7_S7_Pfiiiiiiiiiiiiii15HIP_vector_typeIjLj3EESA_.has_recursion, or(0, .L_ZL14no_device_codePKciS0_iS0_.has_recursion)
	.set _ZL13mul_mat_f_idsI7__half2Li32ELi3ELi2EEvPKT_PKfPKiS7_S7_Pfiiiiiiiiiiiiii15HIP_vector_typeIjLj3EESA_.has_indirect_call, or(0, .L_ZL14no_device_codePKciS0_iS0_.has_indirect_call)
	.section	.AMDGPU.csdata,"",@progbits
; Kernel info:
; codeLenInByte = 84
; TotalNumSgprs: 38
; NumVgprs: 38
; ScratchSize: 16
; MemoryBound: 0
; FloatMode: 240
; IeeeMode: 1
; LDSByteSize: 0 bytes/workgroup (compile time only)
; SGPRBlocks: 4
; VGPRBlocks: 9
; NumSGPRsForWavesPerEU: 38
; NumVGPRsForWavesPerEU: 38
; Occupancy: 6
; WaveLimiterHint : 1
; COMPUTE_PGM_RSRC2:SCRATCH_EN: 1
; COMPUTE_PGM_RSRC2:USER_SGPR: 6
; COMPUTE_PGM_RSRC2:TRAP_HANDLER: 0
; COMPUTE_PGM_RSRC2:TGID_X_EN: 1
; COMPUTE_PGM_RSRC2:TGID_Y_EN: 0
; COMPUTE_PGM_RSRC2:TGID_Z_EN: 0
; COMPUTE_PGM_RSRC2:TIDIG_COMP_CNT: 0
	.section	.text._ZL9mul_mat_fI7__half2Li32ELi3ELi2ELb1EEvPKT_PKfPKiPfiiiiiiiiiiiiiiii,"axG",@progbits,_ZL9mul_mat_fI7__half2Li32ELi3ELi2ELb1EEvPKT_PKfPKiPfiiiiiiiiiiiiiiii,comdat
	.globl	_ZL9mul_mat_fI7__half2Li32ELi3ELi2ELb1EEvPKT_PKfPKiPfiiiiiiiiiiiiiiii ; -- Begin function _ZL9mul_mat_fI7__half2Li32ELi3ELi2ELb1EEvPKT_PKfPKiPfiiiiiiiiiiiiiiii
	.p2align	8
	.type	_ZL9mul_mat_fI7__half2Li32ELi3ELi2ELb1EEvPKT_PKfPKiPfiiiiiiiiiiiiiiii,@function
_ZL9mul_mat_fI7__half2Li32ELi3ELi2ELb1EEvPKT_PKfPKiPfiiiiiiiiiiiiiiii: ; @_ZL9mul_mat_fI7__half2Li32ELi3ELi2ELb1EEvPKT_PKfPKiPfiiiiiiiiiiiiiiii
; %bb.0:
	s_add_u32 s0, s0, s7
	s_addc_u32 s1, s1, 0
	s_add_u32 s8, s4, 0x60
	s_addc_u32 s9, s5, 0
	s_getpc_b64 s[4:5]
	s_add_u32 s4, s4, __FUNCTION__._ZL9mul_mat_fIfLi32ELi3ELi1ELb1EEvPKT_PKfPKiPfiiiiiiiiiiiiiiii@rel32@lo+4
	s_addc_u32 s5, s5, __FUNCTION__._ZL9mul_mat_fIfLi32ELi3ELi1ELb1EEvPKT_PKfPKiPfiiiiiiiiiiiiiiii@rel32@hi+12
	s_getpc_b64 s[6:7]
	s_add_u32 s6, s6, _ZL14no_device_codePKciS0_iS0_@rel32@lo+4
	s_addc_u32 s7, s7, _ZL14no_device_codePKciS0_iS0_@rel32@hi+12
	v_mov_b32_e32 v0, 0x124
	v_mov_b32_e32 v1, s4
	;; [unrolled: 1-line block ×3, first 2 shown]
	s_mov_b32 s32, 0
	s_swappc_b64 s[30:31], s[6:7]
	.section	.rodata,"a",@progbits
	.p2align	6, 0x0
	.amdhsa_kernel _ZL9mul_mat_fI7__half2Li32ELi3ELi2ELb1EEvPKT_PKfPKiPfiiiiiiiiiiiiiiii
		.amdhsa_group_segment_fixed_size 0
		.amdhsa_private_segment_fixed_size 16
		.amdhsa_kernarg_size 352
		.amdhsa_user_sgpr_count 6
		.amdhsa_user_sgpr_private_segment_buffer 1
		.amdhsa_user_sgpr_dispatch_ptr 0
		.amdhsa_user_sgpr_queue_ptr 0
		.amdhsa_user_sgpr_kernarg_segment_ptr 1
		.amdhsa_user_sgpr_dispatch_id 0
		.amdhsa_user_sgpr_flat_scratch_init 0
		.amdhsa_user_sgpr_private_segment_size 0
		.amdhsa_uses_dynamic_stack 0
		.amdhsa_system_sgpr_private_segment_wavefront_offset 1
		.amdhsa_system_sgpr_workgroup_id_x 1
		.amdhsa_system_sgpr_workgroup_id_y 0
		.amdhsa_system_sgpr_workgroup_id_z 0
		.amdhsa_system_sgpr_workgroup_info 0
		.amdhsa_system_vgpr_workitem_id 0
		.amdhsa_next_free_vgpr 38
		.amdhsa_next_free_sgpr 34
		.amdhsa_reserve_vcc 1
		.amdhsa_reserve_flat_scratch 0
		.amdhsa_float_round_mode_32 0
		.amdhsa_float_round_mode_16_64 0
		.amdhsa_float_denorm_mode_32 3
		.amdhsa_float_denorm_mode_16_64 3
		.amdhsa_dx10_clamp 1
		.amdhsa_ieee_mode 1
		.amdhsa_fp16_overflow 0
		.amdhsa_exception_fp_ieee_invalid_op 0
		.amdhsa_exception_fp_denorm_src 0
		.amdhsa_exception_fp_ieee_div_zero 0
		.amdhsa_exception_fp_ieee_overflow 0
		.amdhsa_exception_fp_ieee_underflow 0
		.amdhsa_exception_fp_ieee_inexact 0
		.amdhsa_exception_int_div_zero 0
	.end_amdhsa_kernel
	.section	.text._ZL9mul_mat_fI7__half2Li32ELi3ELi2ELb1EEvPKT_PKfPKiPfiiiiiiiiiiiiiiii,"axG",@progbits,_ZL9mul_mat_fI7__half2Li32ELi3ELi2ELb1EEvPKT_PKfPKiPfiiiiiiiiiiiiiiii,comdat
.Lfunc_end31:
	.size	_ZL9mul_mat_fI7__half2Li32ELi3ELi2ELb1EEvPKT_PKfPKiPfiiiiiiiiiiiiiiii, .Lfunc_end31-_ZL9mul_mat_fI7__half2Li32ELi3ELi2ELb1EEvPKT_PKfPKiPfiiiiiiiiiiiiiiii
                                        ; -- End function
	.set _ZL9mul_mat_fI7__half2Li32ELi3ELi2ELb1EEvPKT_PKfPKiPfiiiiiiiiiiiiiiii.num_vgpr, max(3, .L_ZL14no_device_codePKciS0_iS0_.num_vgpr)
	.set _ZL9mul_mat_fI7__half2Li32ELi3ELi2ELb1EEvPKT_PKfPKiPfiiiiiiiiiiiiiiii.num_agpr, max(0, .L_ZL14no_device_codePKciS0_iS0_.num_agpr)
	.set _ZL9mul_mat_fI7__half2Li32ELi3ELi2ELb1EEvPKT_PKfPKiPfiiiiiiiiiiiiiiii.numbered_sgpr, max(33, .L_ZL14no_device_codePKciS0_iS0_.numbered_sgpr)
	.set _ZL9mul_mat_fI7__half2Li32ELi3ELi2ELb1EEvPKT_PKfPKiPfiiiiiiiiiiiiiiii.num_named_barrier, max(0, .L_ZL14no_device_codePKciS0_iS0_.num_named_barrier)
	.set _ZL9mul_mat_fI7__half2Li32ELi3ELi2ELb1EEvPKT_PKfPKiPfiiiiiiiiiiiiiiii.private_seg_size, 0+max(.L_ZL14no_device_codePKciS0_iS0_.private_seg_size)
	.set _ZL9mul_mat_fI7__half2Li32ELi3ELi2ELb1EEvPKT_PKfPKiPfiiiiiiiiiiiiiiii.uses_vcc, or(1, .L_ZL14no_device_codePKciS0_iS0_.uses_vcc)
	.set _ZL9mul_mat_fI7__half2Li32ELi3ELi2ELb1EEvPKT_PKfPKiPfiiiiiiiiiiiiiiii.uses_flat_scratch, or(0, .L_ZL14no_device_codePKciS0_iS0_.uses_flat_scratch)
	.set _ZL9mul_mat_fI7__half2Li32ELi3ELi2ELb1EEvPKT_PKfPKiPfiiiiiiiiiiiiiiii.has_dyn_sized_stack, or(0, .L_ZL14no_device_codePKciS0_iS0_.has_dyn_sized_stack)
	.set _ZL9mul_mat_fI7__half2Li32ELi3ELi2ELb1EEvPKT_PKfPKiPfiiiiiiiiiiiiiiii.has_recursion, or(0, .L_ZL14no_device_codePKciS0_iS0_.has_recursion)
	.set _ZL9mul_mat_fI7__half2Li32ELi3ELi2ELb1EEvPKT_PKfPKiPfiiiiiiiiiiiiiiii.has_indirect_call, or(0, .L_ZL14no_device_codePKciS0_iS0_.has_indirect_call)
	.section	.AMDGPU.csdata,"",@progbits
; Kernel info:
; codeLenInByte = 84
; TotalNumSgprs: 38
; NumVgprs: 38
; ScratchSize: 16
; MemoryBound: 0
; FloatMode: 240
; IeeeMode: 1
; LDSByteSize: 0 bytes/workgroup (compile time only)
; SGPRBlocks: 4
; VGPRBlocks: 9
; NumSGPRsForWavesPerEU: 38
; NumVGPRsForWavesPerEU: 38
; Occupancy: 6
; WaveLimiterHint : 1
; COMPUTE_PGM_RSRC2:SCRATCH_EN: 1
; COMPUTE_PGM_RSRC2:USER_SGPR: 6
; COMPUTE_PGM_RSRC2:TRAP_HANDLER: 0
; COMPUTE_PGM_RSRC2:TGID_X_EN: 1
; COMPUTE_PGM_RSRC2:TGID_Y_EN: 0
; COMPUTE_PGM_RSRC2:TGID_Z_EN: 0
; COMPUTE_PGM_RSRC2:TIDIG_COMP_CNT: 0
	.section	.text._ZL9mul_mat_fI7__half2Li32ELi3ELi2ELb0EEvPKT_PKfPKiPfiiiiiiiiiiiiiiii,"axG",@progbits,_ZL9mul_mat_fI7__half2Li32ELi3ELi2ELb0EEvPKT_PKfPKiPfiiiiiiiiiiiiiiii,comdat
	.globl	_ZL9mul_mat_fI7__half2Li32ELi3ELi2ELb0EEvPKT_PKfPKiPfiiiiiiiiiiiiiiii ; -- Begin function _ZL9mul_mat_fI7__half2Li32ELi3ELi2ELb0EEvPKT_PKfPKiPfiiiiiiiiiiiiiiii
	.p2align	8
	.type	_ZL9mul_mat_fI7__half2Li32ELi3ELi2ELb0EEvPKT_PKfPKiPfiiiiiiiiiiiiiiii,@function
_ZL9mul_mat_fI7__half2Li32ELi3ELi2ELb0EEvPKT_PKfPKiPfiiiiiiiiiiiiiiii: ; @_ZL9mul_mat_fI7__half2Li32ELi3ELi2ELb0EEvPKT_PKfPKiPfiiiiiiiiiiiiiiii
; %bb.0:
	s_add_u32 s0, s0, s7
	s_addc_u32 s1, s1, 0
	s_add_u32 s8, s4, 0x60
	s_addc_u32 s9, s5, 0
	s_getpc_b64 s[4:5]
	s_add_u32 s4, s4, __FUNCTION__._ZL9mul_mat_fIfLi32ELi3ELi1ELb1EEvPKT_PKfPKiPfiiiiiiiiiiiiiiii@rel32@lo+4
	s_addc_u32 s5, s5, __FUNCTION__._ZL9mul_mat_fIfLi32ELi3ELi1ELb1EEvPKT_PKfPKiPfiiiiiiiiiiiiiiii@rel32@hi+12
	s_getpc_b64 s[6:7]
	s_add_u32 s6, s6, _ZL14no_device_codePKciS0_iS0_@rel32@lo+4
	s_addc_u32 s7, s7, _ZL14no_device_codePKciS0_iS0_@rel32@hi+12
	v_mov_b32_e32 v0, 0x124
	v_mov_b32_e32 v1, s4
	;; [unrolled: 1-line block ×3, first 2 shown]
	s_mov_b32 s32, 0
	s_swappc_b64 s[30:31], s[6:7]
	.section	.rodata,"a",@progbits
	.p2align	6, 0x0
	.amdhsa_kernel _ZL9mul_mat_fI7__half2Li32ELi3ELi2ELb0EEvPKT_PKfPKiPfiiiiiiiiiiiiiiii
		.amdhsa_group_segment_fixed_size 0
		.amdhsa_private_segment_fixed_size 16
		.amdhsa_kernarg_size 352
		.amdhsa_user_sgpr_count 6
		.amdhsa_user_sgpr_private_segment_buffer 1
		.amdhsa_user_sgpr_dispatch_ptr 0
		.amdhsa_user_sgpr_queue_ptr 0
		.amdhsa_user_sgpr_kernarg_segment_ptr 1
		.amdhsa_user_sgpr_dispatch_id 0
		.amdhsa_user_sgpr_flat_scratch_init 0
		.amdhsa_user_sgpr_private_segment_size 0
		.amdhsa_uses_dynamic_stack 0
		.amdhsa_system_sgpr_private_segment_wavefront_offset 1
		.amdhsa_system_sgpr_workgroup_id_x 1
		.amdhsa_system_sgpr_workgroup_id_y 0
		.amdhsa_system_sgpr_workgroup_id_z 0
		.amdhsa_system_sgpr_workgroup_info 0
		.amdhsa_system_vgpr_workitem_id 0
		.amdhsa_next_free_vgpr 38
		.amdhsa_next_free_sgpr 34
		.amdhsa_reserve_vcc 1
		.amdhsa_reserve_flat_scratch 0
		.amdhsa_float_round_mode_32 0
		.amdhsa_float_round_mode_16_64 0
		.amdhsa_float_denorm_mode_32 3
		.amdhsa_float_denorm_mode_16_64 3
		.amdhsa_dx10_clamp 1
		.amdhsa_ieee_mode 1
		.amdhsa_fp16_overflow 0
		.amdhsa_exception_fp_ieee_invalid_op 0
		.amdhsa_exception_fp_denorm_src 0
		.amdhsa_exception_fp_ieee_div_zero 0
		.amdhsa_exception_fp_ieee_overflow 0
		.amdhsa_exception_fp_ieee_underflow 0
		.amdhsa_exception_fp_ieee_inexact 0
		.amdhsa_exception_int_div_zero 0
	.end_amdhsa_kernel
	.section	.text._ZL9mul_mat_fI7__half2Li32ELi3ELi2ELb0EEvPKT_PKfPKiPfiiiiiiiiiiiiiiii,"axG",@progbits,_ZL9mul_mat_fI7__half2Li32ELi3ELi2ELb0EEvPKT_PKfPKiPfiiiiiiiiiiiiiiii,comdat
.Lfunc_end32:
	.size	_ZL9mul_mat_fI7__half2Li32ELi3ELi2ELb0EEvPKT_PKfPKiPfiiiiiiiiiiiiiiii, .Lfunc_end32-_ZL9mul_mat_fI7__half2Li32ELi3ELi2ELb0EEvPKT_PKfPKiPfiiiiiiiiiiiiiiii
                                        ; -- End function
	.set _ZL9mul_mat_fI7__half2Li32ELi3ELi2ELb0EEvPKT_PKfPKiPfiiiiiiiiiiiiiiii.num_vgpr, max(3, .L_ZL14no_device_codePKciS0_iS0_.num_vgpr)
	.set _ZL9mul_mat_fI7__half2Li32ELi3ELi2ELb0EEvPKT_PKfPKiPfiiiiiiiiiiiiiiii.num_agpr, max(0, .L_ZL14no_device_codePKciS0_iS0_.num_agpr)
	.set _ZL9mul_mat_fI7__half2Li32ELi3ELi2ELb0EEvPKT_PKfPKiPfiiiiiiiiiiiiiiii.numbered_sgpr, max(33, .L_ZL14no_device_codePKciS0_iS0_.numbered_sgpr)
	.set _ZL9mul_mat_fI7__half2Li32ELi3ELi2ELb0EEvPKT_PKfPKiPfiiiiiiiiiiiiiiii.num_named_barrier, max(0, .L_ZL14no_device_codePKciS0_iS0_.num_named_barrier)
	.set _ZL9mul_mat_fI7__half2Li32ELi3ELi2ELb0EEvPKT_PKfPKiPfiiiiiiiiiiiiiiii.private_seg_size, 0+max(.L_ZL14no_device_codePKciS0_iS0_.private_seg_size)
	.set _ZL9mul_mat_fI7__half2Li32ELi3ELi2ELb0EEvPKT_PKfPKiPfiiiiiiiiiiiiiiii.uses_vcc, or(1, .L_ZL14no_device_codePKciS0_iS0_.uses_vcc)
	.set _ZL9mul_mat_fI7__half2Li32ELi3ELi2ELb0EEvPKT_PKfPKiPfiiiiiiiiiiiiiiii.uses_flat_scratch, or(0, .L_ZL14no_device_codePKciS0_iS0_.uses_flat_scratch)
	.set _ZL9mul_mat_fI7__half2Li32ELi3ELi2ELb0EEvPKT_PKfPKiPfiiiiiiiiiiiiiiii.has_dyn_sized_stack, or(0, .L_ZL14no_device_codePKciS0_iS0_.has_dyn_sized_stack)
	.set _ZL9mul_mat_fI7__half2Li32ELi3ELi2ELb0EEvPKT_PKfPKiPfiiiiiiiiiiiiiiii.has_recursion, or(0, .L_ZL14no_device_codePKciS0_iS0_.has_recursion)
	.set _ZL9mul_mat_fI7__half2Li32ELi3ELi2ELb0EEvPKT_PKfPKiPfiiiiiiiiiiiiiiii.has_indirect_call, or(0, .L_ZL14no_device_codePKciS0_iS0_.has_indirect_call)
	.section	.AMDGPU.csdata,"",@progbits
; Kernel info:
; codeLenInByte = 84
; TotalNumSgprs: 38
; NumVgprs: 38
; ScratchSize: 16
; MemoryBound: 0
; FloatMode: 240
; IeeeMode: 1
; LDSByteSize: 0 bytes/workgroup (compile time only)
; SGPRBlocks: 4
; VGPRBlocks: 9
; NumSGPRsForWavesPerEU: 38
; NumVGPRsForWavesPerEU: 38
; Occupancy: 6
; WaveLimiterHint : 1
; COMPUTE_PGM_RSRC2:SCRATCH_EN: 1
; COMPUTE_PGM_RSRC2:USER_SGPR: 6
; COMPUTE_PGM_RSRC2:TRAP_HANDLER: 0
; COMPUTE_PGM_RSRC2:TGID_X_EN: 1
; COMPUTE_PGM_RSRC2:TGID_Y_EN: 0
; COMPUTE_PGM_RSRC2:TGID_Z_EN: 0
; COMPUTE_PGM_RSRC2:TIDIG_COMP_CNT: 0
	.section	.text._ZL13mul_mat_f_idsI7__half2Li32ELi3ELi3EEvPKT_PKfPKiS7_S7_Pfiiiiiiiiiiiiii15HIP_vector_typeIjLj3EESA_,"axG",@progbits,_ZL13mul_mat_f_idsI7__half2Li32ELi3ELi3EEvPKT_PKfPKiS7_S7_Pfiiiiiiiiiiiiii15HIP_vector_typeIjLj3EESA_,comdat
	.globl	_ZL13mul_mat_f_idsI7__half2Li32ELi3ELi3EEvPKT_PKfPKiS7_S7_Pfiiiiiiiiiiiiii15HIP_vector_typeIjLj3EESA_ ; -- Begin function _ZL13mul_mat_f_idsI7__half2Li32ELi3ELi3EEvPKT_PKfPKiS7_S7_Pfiiiiiiiiiiiiii15HIP_vector_typeIjLj3EESA_
	.p2align	8
	.type	_ZL13mul_mat_f_idsI7__half2Li32ELi3ELi3EEvPKT_PKfPKiS7_S7_Pfiiiiiiiiiiiiii15HIP_vector_typeIjLj3EESA_,@function
_ZL13mul_mat_f_idsI7__half2Li32ELi3ELi3EEvPKT_PKfPKiS7_S7_Pfiiiiiiiiiiiiii15HIP_vector_typeIjLj3EESA_: ; @_ZL13mul_mat_f_idsI7__half2Li32ELi3ELi3EEvPKT_PKfPKiS7_S7_Pfiiiiiiiiiiiiii15HIP_vector_typeIjLj3EESA_
; %bb.0:
	s_add_u32 s0, s0, s7
	s_addc_u32 s1, s1, 0
	s_add_u32 s8, s4, 0x80
	s_addc_u32 s9, s5, 0
	s_getpc_b64 s[4:5]
	s_add_u32 s4, s4, __FUNCTION__._ZL13mul_mat_f_idsIfLi32ELi3ELi1EEvPKT_PKfPKiS6_S6_Pfiiiiiiiiiiiiii15HIP_vector_typeIjLj3EES9_@rel32@lo+4
	s_addc_u32 s5, s5, __FUNCTION__._ZL13mul_mat_f_idsIfLi32ELi3ELi1EEvPKT_PKfPKiS6_S6_Pfiiiiiiiiiiiiii15HIP_vector_typeIjLj3EES9_@rel32@hi+12
	s_getpc_b64 s[6:7]
	s_add_u32 s6, s6, _ZL14no_device_codePKciS0_iS0_@rel32@lo+4
	s_addc_u32 s7, s7, _ZL14no_device_codePKciS0_iS0_@rel32@hi+12
	v_mov_b32_e32 v0, 0x238
	v_mov_b32_e32 v1, s4
	;; [unrolled: 1-line block ×3, first 2 shown]
	s_mov_b32 s32, 0
	s_swappc_b64 s[30:31], s[6:7]
	.section	.rodata,"a",@progbits
	.p2align	6, 0x0
	.amdhsa_kernel _ZL13mul_mat_f_idsI7__half2Li32ELi3ELi3EEvPKT_PKfPKiS7_S7_Pfiiiiiiiiiiiiii15HIP_vector_typeIjLj3EESA_
		.amdhsa_group_segment_fixed_size 0
		.amdhsa_private_segment_fixed_size 16
		.amdhsa_kernarg_size 384
		.amdhsa_user_sgpr_count 6
		.amdhsa_user_sgpr_private_segment_buffer 1
		.amdhsa_user_sgpr_dispatch_ptr 0
		.amdhsa_user_sgpr_queue_ptr 0
		.amdhsa_user_sgpr_kernarg_segment_ptr 1
		.amdhsa_user_sgpr_dispatch_id 0
		.amdhsa_user_sgpr_flat_scratch_init 0
		.amdhsa_user_sgpr_private_segment_size 0
		.amdhsa_uses_dynamic_stack 0
		.amdhsa_system_sgpr_private_segment_wavefront_offset 1
		.amdhsa_system_sgpr_workgroup_id_x 1
		.amdhsa_system_sgpr_workgroup_id_y 0
		.amdhsa_system_sgpr_workgroup_id_z 0
		.amdhsa_system_sgpr_workgroup_info 0
		.amdhsa_system_vgpr_workitem_id 0
		.amdhsa_next_free_vgpr 38
		.amdhsa_next_free_sgpr 34
		.amdhsa_reserve_vcc 1
		.amdhsa_reserve_flat_scratch 0
		.amdhsa_float_round_mode_32 0
		.amdhsa_float_round_mode_16_64 0
		.amdhsa_float_denorm_mode_32 3
		.amdhsa_float_denorm_mode_16_64 3
		.amdhsa_dx10_clamp 1
		.amdhsa_ieee_mode 1
		.amdhsa_fp16_overflow 0
		.amdhsa_exception_fp_ieee_invalid_op 0
		.amdhsa_exception_fp_denorm_src 0
		.amdhsa_exception_fp_ieee_div_zero 0
		.amdhsa_exception_fp_ieee_overflow 0
		.amdhsa_exception_fp_ieee_underflow 0
		.amdhsa_exception_fp_ieee_inexact 0
		.amdhsa_exception_int_div_zero 0
	.end_amdhsa_kernel
	.section	.text._ZL13mul_mat_f_idsI7__half2Li32ELi3ELi3EEvPKT_PKfPKiS7_S7_Pfiiiiiiiiiiiiii15HIP_vector_typeIjLj3EESA_,"axG",@progbits,_ZL13mul_mat_f_idsI7__half2Li32ELi3ELi3EEvPKT_PKfPKiS7_S7_Pfiiiiiiiiiiiiii15HIP_vector_typeIjLj3EESA_,comdat
.Lfunc_end33:
	.size	_ZL13mul_mat_f_idsI7__half2Li32ELi3ELi3EEvPKT_PKfPKiS7_S7_Pfiiiiiiiiiiiiii15HIP_vector_typeIjLj3EESA_, .Lfunc_end33-_ZL13mul_mat_f_idsI7__half2Li32ELi3ELi3EEvPKT_PKfPKiS7_S7_Pfiiiiiiiiiiiiii15HIP_vector_typeIjLj3EESA_
                                        ; -- End function
	.set _ZL13mul_mat_f_idsI7__half2Li32ELi3ELi3EEvPKT_PKfPKiS7_S7_Pfiiiiiiiiiiiiii15HIP_vector_typeIjLj3EESA_.num_vgpr, max(3, .L_ZL14no_device_codePKciS0_iS0_.num_vgpr)
	.set _ZL13mul_mat_f_idsI7__half2Li32ELi3ELi3EEvPKT_PKfPKiS7_S7_Pfiiiiiiiiiiiiii15HIP_vector_typeIjLj3EESA_.num_agpr, max(0, .L_ZL14no_device_codePKciS0_iS0_.num_agpr)
	.set _ZL13mul_mat_f_idsI7__half2Li32ELi3ELi3EEvPKT_PKfPKiS7_S7_Pfiiiiiiiiiiiiii15HIP_vector_typeIjLj3EESA_.numbered_sgpr, max(33, .L_ZL14no_device_codePKciS0_iS0_.numbered_sgpr)
	.set _ZL13mul_mat_f_idsI7__half2Li32ELi3ELi3EEvPKT_PKfPKiS7_S7_Pfiiiiiiiiiiiiii15HIP_vector_typeIjLj3EESA_.num_named_barrier, max(0, .L_ZL14no_device_codePKciS0_iS0_.num_named_barrier)
	.set _ZL13mul_mat_f_idsI7__half2Li32ELi3ELi3EEvPKT_PKfPKiS7_S7_Pfiiiiiiiiiiiiii15HIP_vector_typeIjLj3EESA_.private_seg_size, 0+max(.L_ZL14no_device_codePKciS0_iS0_.private_seg_size)
	.set _ZL13mul_mat_f_idsI7__half2Li32ELi3ELi3EEvPKT_PKfPKiS7_S7_Pfiiiiiiiiiiiiii15HIP_vector_typeIjLj3EESA_.uses_vcc, or(1, .L_ZL14no_device_codePKciS0_iS0_.uses_vcc)
	.set _ZL13mul_mat_f_idsI7__half2Li32ELi3ELi3EEvPKT_PKfPKiS7_S7_Pfiiiiiiiiiiiiii15HIP_vector_typeIjLj3EESA_.uses_flat_scratch, or(0, .L_ZL14no_device_codePKciS0_iS0_.uses_flat_scratch)
	.set _ZL13mul_mat_f_idsI7__half2Li32ELi3ELi3EEvPKT_PKfPKiS7_S7_Pfiiiiiiiiiiiiii15HIP_vector_typeIjLj3EESA_.has_dyn_sized_stack, or(0, .L_ZL14no_device_codePKciS0_iS0_.has_dyn_sized_stack)
	.set _ZL13mul_mat_f_idsI7__half2Li32ELi3ELi3EEvPKT_PKfPKiS7_S7_Pfiiiiiiiiiiiiii15HIP_vector_typeIjLj3EESA_.has_recursion, or(0, .L_ZL14no_device_codePKciS0_iS0_.has_recursion)
	.set _ZL13mul_mat_f_idsI7__half2Li32ELi3ELi3EEvPKT_PKfPKiS7_S7_Pfiiiiiiiiiiiiii15HIP_vector_typeIjLj3EESA_.has_indirect_call, or(0, .L_ZL14no_device_codePKciS0_iS0_.has_indirect_call)
	.section	.AMDGPU.csdata,"",@progbits
; Kernel info:
; codeLenInByte = 84
; TotalNumSgprs: 38
; NumVgprs: 38
; ScratchSize: 16
; MemoryBound: 0
; FloatMode: 240
; IeeeMode: 1
; LDSByteSize: 0 bytes/workgroup (compile time only)
; SGPRBlocks: 4
; VGPRBlocks: 9
; NumSGPRsForWavesPerEU: 38
; NumVGPRsForWavesPerEU: 38
; Occupancy: 6
; WaveLimiterHint : 1
; COMPUTE_PGM_RSRC2:SCRATCH_EN: 1
; COMPUTE_PGM_RSRC2:USER_SGPR: 6
; COMPUTE_PGM_RSRC2:TRAP_HANDLER: 0
; COMPUTE_PGM_RSRC2:TGID_X_EN: 1
; COMPUTE_PGM_RSRC2:TGID_Y_EN: 0
; COMPUTE_PGM_RSRC2:TGID_Z_EN: 0
; COMPUTE_PGM_RSRC2:TIDIG_COMP_CNT: 0
	.section	.text._ZL9mul_mat_fI7__half2Li32ELi3ELi3ELb1EEvPKT_PKfPKiPfiiiiiiiiiiiiiiii,"axG",@progbits,_ZL9mul_mat_fI7__half2Li32ELi3ELi3ELb1EEvPKT_PKfPKiPfiiiiiiiiiiiiiiii,comdat
	.globl	_ZL9mul_mat_fI7__half2Li32ELi3ELi3ELb1EEvPKT_PKfPKiPfiiiiiiiiiiiiiiii ; -- Begin function _ZL9mul_mat_fI7__half2Li32ELi3ELi3ELb1EEvPKT_PKfPKiPfiiiiiiiiiiiiiiii
	.p2align	8
	.type	_ZL9mul_mat_fI7__half2Li32ELi3ELi3ELb1EEvPKT_PKfPKiPfiiiiiiiiiiiiiiii,@function
_ZL9mul_mat_fI7__half2Li32ELi3ELi3ELb1EEvPKT_PKfPKiPfiiiiiiiiiiiiiiii: ; @_ZL9mul_mat_fI7__half2Li32ELi3ELi3ELb1EEvPKT_PKfPKiPfiiiiiiiiiiiiiiii
; %bb.0:
	s_add_u32 s0, s0, s7
	s_addc_u32 s1, s1, 0
	s_add_u32 s8, s4, 0x60
	s_addc_u32 s9, s5, 0
	s_getpc_b64 s[4:5]
	s_add_u32 s4, s4, __FUNCTION__._ZL9mul_mat_fIfLi32ELi3ELi1ELb1EEvPKT_PKfPKiPfiiiiiiiiiiiiiiii@rel32@lo+4
	s_addc_u32 s5, s5, __FUNCTION__._ZL9mul_mat_fIfLi32ELi3ELi1ELb1EEvPKT_PKfPKiPfiiiiiiiiiiiiiiii@rel32@hi+12
	s_getpc_b64 s[6:7]
	s_add_u32 s6, s6, _ZL14no_device_codePKciS0_iS0_@rel32@lo+4
	s_addc_u32 s7, s7, _ZL14no_device_codePKciS0_iS0_@rel32@hi+12
	v_mov_b32_e32 v0, 0x124
	v_mov_b32_e32 v1, s4
	;; [unrolled: 1-line block ×3, first 2 shown]
	s_mov_b32 s32, 0
	s_swappc_b64 s[30:31], s[6:7]
	.section	.rodata,"a",@progbits
	.p2align	6, 0x0
	.amdhsa_kernel _ZL9mul_mat_fI7__half2Li32ELi3ELi3ELb1EEvPKT_PKfPKiPfiiiiiiiiiiiiiiii
		.amdhsa_group_segment_fixed_size 0
		.amdhsa_private_segment_fixed_size 16
		.amdhsa_kernarg_size 352
		.amdhsa_user_sgpr_count 6
		.amdhsa_user_sgpr_private_segment_buffer 1
		.amdhsa_user_sgpr_dispatch_ptr 0
		.amdhsa_user_sgpr_queue_ptr 0
		.amdhsa_user_sgpr_kernarg_segment_ptr 1
		.amdhsa_user_sgpr_dispatch_id 0
		.amdhsa_user_sgpr_flat_scratch_init 0
		.amdhsa_user_sgpr_private_segment_size 0
		.amdhsa_uses_dynamic_stack 0
		.amdhsa_system_sgpr_private_segment_wavefront_offset 1
		.amdhsa_system_sgpr_workgroup_id_x 1
		.amdhsa_system_sgpr_workgroup_id_y 0
		.amdhsa_system_sgpr_workgroup_id_z 0
		.amdhsa_system_sgpr_workgroup_info 0
		.amdhsa_system_vgpr_workitem_id 0
		.amdhsa_next_free_vgpr 38
		.amdhsa_next_free_sgpr 34
		.amdhsa_reserve_vcc 1
		.amdhsa_reserve_flat_scratch 0
		.amdhsa_float_round_mode_32 0
		.amdhsa_float_round_mode_16_64 0
		.amdhsa_float_denorm_mode_32 3
		.amdhsa_float_denorm_mode_16_64 3
		.amdhsa_dx10_clamp 1
		.amdhsa_ieee_mode 1
		.amdhsa_fp16_overflow 0
		.amdhsa_exception_fp_ieee_invalid_op 0
		.amdhsa_exception_fp_denorm_src 0
		.amdhsa_exception_fp_ieee_div_zero 0
		.amdhsa_exception_fp_ieee_overflow 0
		.amdhsa_exception_fp_ieee_underflow 0
		.amdhsa_exception_fp_ieee_inexact 0
		.amdhsa_exception_int_div_zero 0
	.end_amdhsa_kernel
	.section	.text._ZL9mul_mat_fI7__half2Li32ELi3ELi3ELb1EEvPKT_PKfPKiPfiiiiiiiiiiiiiiii,"axG",@progbits,_ZL9mul_mat_fI7__half2Li32ELi3ELi3ELb1EEvPKT_PKfPKiPfiiiiiiiiiiiiiiii,comdat
.Lfunc_end34:
	.size	_ZL9mul_mat_fI7__half2Li32ELi3ELi3ELb1EEvPKT_PKfPKiPfiiiiiiiiiiiiiiii, .Lfunc_end34-_ZL9mul_mat_fI7__half2Li32ELi3ELi3ELb1EEvPKT_PKfPKiPfiiiiiiiiiiiiiiii
                                        ; -- End function
	.set _ZL9mul_mat_fI7__half2Li32ELi3ELi3ELb1EEvPKT_PKfPKiPfiiiiiiiiiiiiiiii.num_vgpr, max(3, .L_ZL14no_device_codePKciS0_iS0_.num_vgpr)
	.set _ZL9mul_mat_fI7__half2Li32ELi3ELi3ELb1EEvPKT_PKfPKiPfiiiiiiiiiiiiiiii.num_agpr, max(0, .L_ZL14no_device_codePKciS0_iS0_.num_agpr)
	.set _ZL9mul_mat_fI7__half2Li32ELi3ELi3ELb1EEvPKT_PKfPKiPfiiiiiiiiiiiiiiii.numbered_sgpr, max(33, .L_ZL14no_device_codePKciS0_iS0_.numbered_sgpr)
	.set _ZL9mul_mat_fI7__half2Li32ELi3ELi3ELb1EEvPKT_PKfPKiPfiiiiiiiiiiiiiiii.num_named_barrier, max(0, .L_ZL14no_device_codePKciS0_iS0_.num_named_barrier)
	.set _ZL9mul_mat_fI7__half2Li32ELi3ELi3ELb1EEvPKT_PKfPKiPfiiiiiiiiiiiiiiii.private_seg_size, 0+max(.L_ZL14no_device_codePKciS0_iS0_.private_seg_size)
	.set _ZL9mul_mat_fI7__half2Li32ELi3ELi3ELb1EEvPKT_PKfPKiPfiiiiiiiiiiiiiiii.uses_vcc, or(1, .L_ZL14no_device_codePKciS0_iS0_.uses_vcc)
	.set _ZL9mul_mat_fI7__half2Li32ELi3ELi3ELb1EEvPKT_PKfPKiPfiiiiiiiiiiiiiiii.uses_flat_scratch, or(0, .L_ZL14no_device_codePKciS0_iS0_.uses_flat_scratch)
	.set _ZL9mul_mat_fI7__half2Li32ELi3ELi3ELb1EEvPKT_PKfPKiPfiiiiiiiiiiiiiiii.has_dyn_sized_stack, or(0, .L_ZL14no_device_codePKciS0_iS0_.has_dyn_sized_stack)
	.set _ZL9mul_mat_fI7__half2Li32ELi3ELi3ELb1EEvPKT_PKfPKiPfiiiiiiiiiiiiiiii.has_recursion, or(0, .L_ZL14no_device_codePKciS0_iS0_.has_recursion)
	.set _ZL9mul_mat_fI7__half2Li32ELi3ELi3ELb1EEvPKT_PKfPKiPfiiiiiiiiiiiiiiii.has_indirect_call, or(0, .L_ZL14no_device_codePKciS0_iS0_.has_indirect_call)
	.section	.AMDGPU.csdata,"",@progbits
; Kernel info:
; codeLenInByte = 84
; TotalNumSgprs: 38
; NumVgprs: 38
; ScratchSize: 16
; MemoryBound: 0
; FloatMode: 240
; IeeeMode: 1
; LDSByteSize: 0 bytes/workgroup (compile time only)
; SGPRBlocks: 4
; VGPRBlocks: 9
; NumSGPRsForWavesPerEU: 38
; NumVGPRsForWavesPerEU: 38
; Occupancy: 6
; WaveLimiterHint : 1
; COMPUTE_PGM_RSRC2:SCRATCH_EN: 1
; COMPUTE_PGM_RSRC2:USER_SGPR: 6
; COMPUTE_PGM_RSRC2:TRAP_HANDLER: 0
; COMPUTE_PGM_RSRC2:TGID_X_EN: 1
; COMPUTE_PGM_RSRC2:TGID_Y_EN: 0
; COMPUTE_PGM_RSRC2:TGID_Z_EN: 0
; COMPUTE_PGM_RSRC2:TIDIG_COMP_CNT: 0
	.section	.text._ZL9mul_mat_fI7__half2Li32ELi3ELi3ELb0EEvPKT_PKfPKiPfiiiiiiiiiiiiiiii,"axG",@progbits,_ZL9mul_mat_fI7__half2Li32ELi3ELi3ELb0EEvPKT_PKfPKiPfiiiiiiiiiiiiiiii,comdat
	.globl	_ZL9mul_mat_fI7__half2Li32ELi3ELi3ELb0EEvPKT_PKfPKiPfiiiiiiiiiiiiiiii ; -- Begin function _ZL9mul_mat_fI7__half2Li32ELi3ELi3ELb0EEvPKT_PKfPKiPfiiiiiiiiiiiiiiii
	.p2align	8
	.type	_ZL9mul_mat_fI7__half2Li32ELi3ELi3ELb0EEvPKT_PKfPKiPfiiiiiiiiiiiiiiii,@function
_ZL9mul_mat_fI7__half2Li32ELi3ELi3ELb0EEvPKT_PKfPKiPfiiiiiiiiiiiiiiii: ; @_ZL9mul_mat_fI7__half2Li32ELi3ELi3ELb0EEvPKT_PKfPKiPfiiiiiiiiiiiiiiii
; %bb.0:
	s_add_u32 s0, s0, s7
	s_addc_u32 s1, s1, 0
	s_add_u32 s8, s4, 0x60
	s_addc_u32 s9, s5, 0
	s_getpc_b64 s[4:5]
	s_add_u32 s4, s4, __FUNCTION__._ZL9mul_mat_fIfLi32ELi3ELi1ELb1EEvPKT_PKfPKiPfiiiiiiiiiiiiiiii@rel32@lo+4
	s_addc_u32 s5, s5, __FUNCTION__._ZL9mul_mat_fIfLi32ELi3ELi1ELb1EEvPKT_PKfPKiPfiiiiiiiiiiiiiiii@rel32@hi+12
	s_getpc_b64 s[6:7]
	s_add_u32 s6, s6, _ZL14no_device_codePKciS0_iS0_@rel32@lo+4
	s_addc_u32 s7, s7, _ZL14no_device_codePKciS0_iS0_@rel32@hi+12
	v_mov_b32_e32 v0, 0x124
	v_mov_b32_e32 v1, s4
	;; [unrolled: 1-line block ×3, first 2 shown]
	s_mov_b32 s32, 0
	s_swappc_b64 s[30:31], s[6:7]
	.section	.rodata,"a",@progbits
	.p2align	6, 0x0
	.amdhsa_kernel _ZL9mul_mat_fI7__half2Li32ELi3ELi3ELb0EEvPKT_PKfPKiPfiiiiiiiiiiiiiiii
		.amdhsa_group_segment_fixed_size 0
		.amdhsa_private_segment_fixed_size 16
		.amdhsa_kernarg_size 352
		.amdhsa_user_sgpr_count 6
		.amdhsa_user_sgpr_private_segment_buffer 1
		.amdhsa_user_sgpr_dispatch_ptr 0
		.amdhsa_user_sgpr_queue_ptr 0
		.amdhsa_user_sgpr_kernarg_segment_ptr 1
		.amdhsa_user_sgpr_dispatch_id 0
		.amdhsa_user_sgpr_flat_scratch_init 0
		.amdhsa_user_sgpr_private_segment_size 0
		.amdhsa_uses_dynamic_stack 0
		.amdhsa_system_sgpr_private_segment_wavefront_offset 1
		.amdhsa_system_sgpr_workgroup_id_x 1
		.amdhsa_system_sgpr_workgroup_id_y 0
		.amdhsa_system_sgpr_workgroup_id_z 0
		.amdhsa_system_sgpr_workgroup_info 0
		.amdhsa_system_vgpr_workitem_id 0
		.amdhsa_next_free_vgpr 38
		.amdhsa_next_free_sgpr 34
		.amdhsa_reserve_vcc 1
		.amdhsa_reserve_flat_scratch 0
		.amdhsa_float_round_mode_32 0
		.amdhsa_float_round_mode_16_64 0
		.amdhsa_float_denorm_mode_32 3
		.amdhsa_float_denorm_mode_16_64 3
		.amdhsa_dx10_clamp 1
		.amdhsa_ieee_mode 1
		.amdhsa_fp16_overflow 0
		.amdhsa_exception_fp_ieee_invalid_op 0
		.amdhsa_exception_fp_denorm_src 0
		.amdhsa_exception_fp_ieee_div_zero 0
		.amdhsa_exception_fp_ieee_overflow 0
		.amdhsa_exception_fp_ieee_underflow 0
		.amdhsa_exception_fp_ieee_inexact 0
		.amdhsa_exception_int_div_zero 0
	.end_amdhsa_kernel
	.section	.text._ZL9mul_mat_fI7__half2Li32ELi3ELi3ELb0EEvPKT_PKfPKiPfiiiiiiiiiiiiiiii,"axG",@progbits,_ZL9mul_mat_fI7__half2Li32ELi3ELi3ELb0EEvPKT_PKfPKiPfiiiiiiiiiiiiiiii,comdat
.Lfunc_end35:
	.size	_ZL9mul_mat_fI7__half2Li32ELi3ELi3ELb0EEvPKT_PKfPKiPfiiiiiiiiiiiiiiii, .Lfunc_end35-_ZL9mul_mat_fI7__half2Li32ELi3ELi3ELb0EEvPKT_PKfPKiPfiiiiiiiiiiiiiiii
                                        ; -- End function
	.set _ZL9mul_mat_fI7__half2Li32ELi3ELi3ELb0EEvPKT_PKfPKiPfiiiiiiiiiiiiiiii.num_vgpr, max(3, .L_ZL14no_device_codePKciS0_iS0_.num_vgpr)
	.set _ZL9mul_mat_fI7__half2Li32ELi3ELi3ELb0EEvPKT_PKfPKiPfiiiiiiiiiiiiiiii.num_agpr, max(0, .L_ZL14no_device_codePKciS0_iS0_.num_agpr)
	.set _ZL9mul_mat_fI7__half2Li32ELi3ELi3ELb0EEvPKT_PKfPKiPfiiiiiiiiiiiiiiii.numbered_sgpr, max(33, .L_ZL14no_device_codePKciS0_iS0_.numbered_sgpr)
	.set _ZL9mul_mat_fI7__half2Li32ELi3ELi3ELb0EEvPKT_PKfPKiPfiiiiiiiiiiiiiiii.num_named_barrier, max(0, .L_ZL14no_device_codePKciS0_iS0_.num_named_barrier)
	.set _ZL9mul_mat_fI7__half2Li32ELi3ELi3ELb0EEvPKT_PKfPKiPfiiiiiiiiiiiiiiii.private_seg_size, 0+max(.L_ZL14no_device_codePKciS0_iS0_.private_seg_size)
	.set _ZL9mul_mat_fI7__half2Li32ELi3ELi3ELb0EEvPKT_PKfPKiPfiiiiiiiiiiiiiiii.uses_vcc, or(1, .L_ZL14no_device_codePKciS0_iS0_.uses_vcc)
	.set _ZL9mul_mat_fI7__half2Li32ELi3ELi3ELb0EEvPKT_PKfPKiPfiiiiiiiiiiiiiiii.uses_flat_scratch, or(0, .L_ZL14no_device_codePKciS0_iS0_.uses_flat_scratch)
	.set _ZL9mul_mat_fI7__half2Li32ELi3ELi3ELb0EEvPKT_PKfPKiPfiiiiiiiiiiiiiiii.has_dyn_sized_stack, or(0, .L_ZL14no_device_codePKciS0_iS0_.has_dyn_sized_stack)
	.set _ZL9mul_mat_fI7__half2Li32ELi3ELi3ELb0EEvPKT_PKfPKiPfiiiiiiiiiiiiiiii.has_recursion, or(0, .L_ZL14no_device_codePKciS0_iS0_.has_recursion)
	.set _ZL9mul_mat_fI7__half2Li32ELi3ELi3ELb0EEvPKT_PKfPKiPfiiiiiiiiiiiiiiii.has_indirect_call, or(0, .L_ZL14no_device_codePKciS0_iS0_.has_indirect_call)
	.section	.AMDGPU.csdata,"",@progbits
; Kernel info:
; codeLenInByte = 84
; TotalNumSgprs: 38
; NumVgprs: 38
; ScratchSize: 16
; MemoryBound: 0
; FloatMode: 240
; IeeeMode: 1
; LDSByteSize: 0 bytes/workgroup (compile time only)
; SGPRBlocks: 4
; VGPRBlocks: 9
; NumSGPRsForWavesPerEU: 38
; NumVGPRsForWavesPerEU: 38
; Occupancy: 6
; WaveLimiterHint : 1
; COMPUTE_PGM_RSRC2:SCRATCH_EN: 1
; COMPUTE_PGM_RSRC2:USER_SGPR: 6
; COMPUTE_PGM_RSRC2:TRAP_HANDLER: 0
; COMPUTE_PGM_RSRC2:TGID_X_EN: 1
; COMPUTE_PGM_RSRC2:TGID_Y_EN: 0
; COMPUTE_PGM_RSRC2:TGID_Z_EN: 0
; COMPUTE_PGM_RSRC2:TIDIG_COMP_CNT: 0
	.section	.text._ZL13mul_mat_f_idsI7__half2Li32ELi3ELi4EEvPKT_PKfPKiS7_S7_Pfiiiiiiiiiiiiii15HIP_vector_typeIjLj3EESA_,"axG",@progbits,_ZL13mul_mat_f_idsI7__half2Li32ELi3ELi4EEvPKT_PKfPKiS7_S7_Pfiiiiiiiiiiiiii15HIP_vector_typeIjLj3EESA_,comdat
	.globl	_ZL13mul_mat_f_idsI7__half2Li32ELi3ELi4EEvPKT_PKfPKiS7_S7_Pfiiiiiiiiiiiiii15HIP_vector_typeIjLj3EESA_ ; -- Begin function _ZL13mul_mat_f_idsI7__half2Li32ELi3ELi4EEvPKT_PKfPKiS7_S7_Pfiiiiiiiiiiiiii15HIP_vector_typeIjLj3EESA_
	.p2align	8
	.type	_ZL13mul_mat_f_idsI7__half2Li32ELi3ELi4EEvPKT_PKfPKiS7_S7_Pfiiiiiiiiiiiiii15HIP_vector_typeIjLj3EESA_,@function
_ZL13mul_mat_f_idsI7__half2Li32ELi3ELi4EEvPKT_PKfPKiS7_S7_Pfiiiiiiiiiiiiii15HIP_vector_typeIjLj3EESA_: ; @_ZL13mul_mat_f_idsI7__half2Li32ELi3ELi4EEvPKT_PKfPKiS7_S7_Pfiiiiiiiiiiiiii15HIP_vector_typeIjLj3EESA_
; %bb.0:
	s_add_u32 s0, s0, s7
	s_addc_u32 s1, s1, 0
	s_add_u32 s8, s4, 0x80
	s_addc_u32 s9, s5, 0
	s_getpc_b64 s[4:5]
	s_add_u32 s4, s4, __FUNCTION__._ZL13mul_mat_f_idsIfLi32ELi3ELi1EEvPKT_PKfPKiS6_S6_Pfiiiiiiiiiiiiii15HIP_vector_typeIjLj3EES9_@rel32@lo+4
	s_addc_u32 s5, s5, __FUNCTION__._ZL13mul_mat_f_idsIfLi32ELi3ELi1EEvPKT_PKfPKiS6_S6_Pfiiiiiiiiiiiiii15HIP_vector_typeIjLj3EES9_@rel32@hi+12
	s_getpc_b64 s[6:7]
	s_add_u32 s6, s6, _ZL14no_device_codePKciS0_iS0_@rel32@lo+4
	s_addc_u32 s7, s7, _ZL14no_device_codePKciS0_iS0_@rel32@hi+12
	v_mov_b32_e32 v0, 0x238
	v_mov_b32_e32 v1, s4
	;; [unrolled: 1-line block ×3, first 2 shown]
	s_mov_b32 s32, 0
	s_swappc_b64 s[30:31], s[6:7]
	.section	.rodata,"a",@progbits
	.p2align	6, 0x0
	.amdhsa_kernel _ZL13mul_mat_f_idsI7__half2Li32ELi3ELi4EEvPKT_PKfPKiS7_S7_Pfiiiiiiiiiiiiii15HIP_vector_typeIjLj3EESA_
		.amdhsa_group_segment_fixed_size 0
		.amdhsa_private_segment_fixed_size 16
		.amdhsa_kernarg_size 384
		.amdhsa_user_sgpr_count 6
		.amdhsa_user_sgpr_private_segment_buffer 1
		.amdhsa_user_sgpr_dispatch_ptr 0
		.amdhsa_user_sgpr_queue_ptr 0
		.amdhsa_user_sgpr_kernarg_segment_ptr 1
		.amdhsa_user_sgpr_dispatch_id 0
		.amdhsa_user_sgpr_flat_scratch_init 0
		.amdhsa_user_sgpr_private_segment_size 0
		.amdhsa_uses_dynamic_stack 0
		.amdhsa_system_sgpr_private_segment_wavefront_offset 1
		.amdhsa_system_sgpr_workgroup_id_x 1
		.amdhsa_system_sgpr_workgroup_id_y 0
		.amdhsa_system_sgpr_workgroup_id_z 0
		.amdhsa_system_sgpr_workgroup_info 0
		.amdhsa_system_vgpr_workitem_id 0
		.amdhsa_next_free_vgpr 38
		.amdhsa_next_free_sgpr 34
		.amdhsa_reserve_vcc 1
		.amdhsa_reserve_flat_scratch 0
		.amdhsa_float_round_mode_32 0
		.amdhsa_float_round_mode_16_64 0
		.amdhsa_float_denorm_mode_32 3
		.amdhsa_float_denorm_mode_16_64 3
		.amdhsa_dx10_clamp 1
		.amdhsa_ieee_mode 1
		.amdhsa_fp16_overflow 0
		.amdhsa_exception_fp_ieee_invalid_op 0
		.amdhsa_exception_fp_denorm_src 0
		.amdhsa_exception_fp_ieee_div_zero 0
		.amdhsa_exception_fp_ieee_overflow 0
		.amdhsa_exception_fp_ieee_underflow 0
		.amdhsa_exception_fp_ieee_inexact 0
		.amdhsa_exception_int_div_zero 0
	.end_amdhsa_kernel
	.section	.text._ZL13mul_mat_f_idsI7__half2Li32ELi3ELi4EEvPKT_PKfPKiS7_S7_Pfiiiiiiiiiiiiii15HIP_vector_typeIjLj3EESA_,"axG",@progbits,_ZL13mul_mat_f_idsI7__half2Li32ELi3ELi4EEvPKT_PKfPKiS7_S7_Pfiiiiiiiiiiiiii15HIP_vector_typeIjLj3EESA_,comdat
.Lfunc_end36:
	.size	_ZL13mul_mat_f_idsI7__half2Li32ELi3ELi4EEvPKT_PKfPKiS7_S7_Pfiiiiiiiiiiiiii15HIP_vector_typeIjLj3EESA_, .Lfunc_end36-_ZL13mul_mat_f_idsI7__half2Li32ELi3ELi4EEvPKT_PKfPKiS7_S7_Pfiiiiiiiiiiiiii15HIP_vector_typeIjLj3EESA_
                                        ; -- End function
	.set _ZL13mul_mat_f_idsI7__half2Li32ELi3ELi4EEvPKT_PKfPKiS7_S7_Pfiiiiiiiiiiiiii15HIP_vector_typeIjLj3EESA_.num_vgpr, max(3, .L_ZL14no_device_codePKciS0_iS0_.num_vgpr)
	.set _ZL13mul_mat_f_idsI7__half2Li32ELi3ELi4EEvPKT_PKfPKiS7_S7_Pfiiiiiiiiiiiiii15HIP_vector_typeIjLj3EESA_.num_agpr, max(0, .L_ZL14no_device_codePKciS0_iS0_.num_agpr)
	.set _ZL13mul_mat_f_idsI7__half2Li32ELi3ELi4EEvPKT_PKfPKiS7_S7_Pfiiiiiiiiiiiiii15HIP_vector_typeIjLj3EESA_.numbered_sgpr, max(33, .L_ZL14no_device_codePKciS0_iS0_.numbered_sgpr)
	.set _ZL13mul_mat_f_idsI7__half2Li32ELi3ELi4EEvPKT_PKfPKiS7_S7_Pfiiiiiiiiiiiiii15HIP_vector_typeIjLj3EESA_.num_named_barrier, max(0, .L_ZL14no_device_codePKciS0_iS0_.num_named_barrier)
	.set _ZL13mul_mat_f_idsI7__half2Li32ELi3ELi4EEvPKT_PKfPKiS7_S7_Pfiiiiiiiiiiiiii15HIP_vector_typeIjLj3EESA_.private_seg_size, 0+max(.L_ZL14no_device_codePKciS0_iS0_.private_seg_size)
	.set _ZL13mul_mat_f_idsI7__half2Li32ELi3ELi4EEvPKT_PKfPKiS7_S7_Pfiiiiiiiiiiiiii15HIP_vector_typeIjLj3EESA_.uses_vcc, or(1, .L_ZL14no_device_codePKciS0_iS0_.uses_vcc)
	.set _ZL13mul_mat_f_idsI7__half2Li32ELi3ELi4EEvPKT_PKfPKiS7_S7_Pfiiiiiiiiiiiiii15HIP_vector_typeIjLj3EESA_.uses_flat_scratch, or(0, .L_ZL14no_device_codePKciS0_iS0_.uses_flat_scratch)
	.set _ZL13mul_mat_f_idsI7__half2Li32ELi3ELi4EEvPKT_PKfPKiS7_S7_Pfiiiiiiiiiiiiii15HIP_vector_typeIjLj3EESA_.has_dyn_sized_stack, or(0, .L_ZL14no_device_codePKciS0_iS0_.has_dyn_sized_stack)
	.set _ZL13mul_mat_f_idsI7__half2Li32ELi3ELi4EEvPKT_PKfPKiS7_S7_Pfiiiiiiiiiiiiii15HIP_vector_typeIjLj3EESA_.has_recursion, or(0, .L_ZL14no_device_codePKciS0_iS0_.has_recursion)
	.set _ZL13mul_mat_f_idsI7__half2Li32ELi3ELi4EEvPKT_PKfPKiS7_S7_Pfiiiiiiiiiiiiii15HIP_vector_typeIjLj3EESA_.has_indirect_call, or(0, .L_ZL14no_device_codePKciS0_iS0_.has_indirect_call)
	.section	.AMDGPU.csdata,"",@progbits
; Kernel info:
; codeLenInByte = 84
; TotalNumSgprs: 38
; NumVgprs: 38
; ScratchSize: 16
; MemoryBound: 0
; FloatMode: 240
; IeeeMode: 1
; LDSByteSize: 0 bytes/workgroup (compile time only)
; SGPRBlocks: 4
; VGPRBlocks: 9
; NumSGPRsForWavesPerEU: 38
; NumVGPRsForWavesPerEU: 38
; Occupancy: 6
; WaveLimiterHint : 1
; COMPUTE_PGM_RSRC2:SCRATCH_EN: 1
; COMPUTE_PGM_RSRC2:USER_SGPR: 6
; COMPUTE_PGM_RSRC2:TRAP_HANDLER: 0
; COMPUTE_PGM_RSRC2:TGID_X_EN: 1
; COMPUTE_PGM_RSRC2:TGID_Y_EN: 0
; COMPUTE_PGM_RSRC2:TGID_Z_EN: 0
; COMPUTE_PGM_RSRC2:TIDIG_COMP_CNT: 0
	.section	.text._ZL9mul_mat_fI7__half2Li32ELi3ELi4ELb1EEvPKT_PKfPKiPfiiiiiiiiiiiiiiii,"axG",@progbits,_ZL9mul_mat_fI7__half2Li32ELi3ELi4ELb1EEvPKT_PKfPKiPfiiiiiiiiiiiiiiii,comdat
	.globl	_ZL9mul_mat_fI7__half2Li32ELi3ELi4ELb1EEvPKT_PKfPKiPfiiiiiiiiiiiiiiii ; -- Begin function _ZL9mul_mat_fI7__half2Li32ELi3ELi4ELb1EEvPKT_PKfPKiPfiiiiiiiiiiiiiiii
	.p2align	8
	.type	_ZL9mul_mat_fI7__half2Li32ELi3ELi4ELb1EEvPKT_PKfPKiPfiiiiiiiiiiiiiiii,@function
_ZL9mul_mat_fI7__half2Li32ELi3ELi4ELb1EEvPKT_PKfPKiPfiiiiiiiiiiiiiiii: ; @_ZL9mul_mat_fI7__half2Li32ELi3ELi4ELb1EEvPKT_PKfPKiPfiiiiiiiiiiiiiiii
; %bb.0:
	s_add_u32 s0, s0, s7
	s_addc_u32 s1, s1, 0
	s_add_u32 s8, s4, 0x60
	s_addc_u32 s9, s5, 0
	s_getpc_b64 s[4:5]
	s_add_u32 s4, s4, __FUNCTION__._ZL9mul_mat_fIfLi32ELi3ELi1ELb1EEvPKT_PKfPKiPfiiiiiiiiiiiiiiii@rel32@lo+4
	s_addc_u32 s5, s5, __FUNCTION__._ZL9mul_mat_fIfLi32ELi3ELi1ELb1EEvPKT_PKfPKiPfiiiiiiiiiiiiiiii@rel32@hi+12
	s_getpc_b64 s[6:7]
	s_add_u32 s6, s6, _ZL14no_device_codePKciS0_iS0_@rel32@lo+4
	s_addc_u32 s7, s7, _ZL14no_device_codePKciS0_iS0_@rel32@hi+12
	v_mov_b32_e32 v0, 0x124
	v_mov_b32_e32 v1, s4
	;; [unrolled: 1-line block ×3, first 2 shown]
	s_mov_b32 s32, 0
	s_swappc_b64 s[30:31], s[6:7]
	.section	.rodata,"a",@progbits
	.p2align	6, 0x0
	.amdhsa_kernel _ZL9mul_mat_fI7__half2Li32ELi3ELi4ELb1EEvPKT_PKfPKiPfiiiiiiiiiiiiiiii
		.amdhsa_group_segment_fixed_size 0
		.amdhsa_private_segment_fixed_size 16
		.amdhsa_kernarg_size 352
		.amdhsa_user_sgpr_count 6
		.amdhsa_user_sgpr_private_segment_buffer 1
		.amdhsa_user_sgpr_dispatch_ptr 0
		.amdhsa_user_sgpr_queue_ptr 0
		.amdhsa_user_sgpr_kernarg_segment_ptr 1
		.amdhsa_user_sgpr_dispatch_id 0
		.amdhsa_user_sgpr_flat_scratch_init 0
		.amdhsa_user_sgpr_private_segment_size 0
		.amdhsa_uses_dynamic_stack 0
		.amdhsa_system_sgpr_private_segment_wavefront_offset 1
		.amdhsa_system_sgpr_workgroup_id_x 1
		.amdhsa_system_sgpr_workgroup_id_y 0
		.amdhsa_system_sgpr_workgroup_id_z 0
		.amdhsa_system_sgpr_workgroup_info 0
		.amdhsa_system_vgpr_workitem_id 0
		.amdhsa_next_free_vgpr 38
		.amdhsa_next_free_sgpr 34
		.amdhsa_reserve_vcc 1
		.amdhsa_reserve_flat_scratch 0
		.amdhsa_float_round_mode_32 0
		.amdhsa_float_round_mode_16_64 0
		.amdhsa_float_denorm_mode_32 3
		.amdhsa_float_denorm_mode_16_64 3
		.amdhsa_dx10_clamp 1
		.amdhsa_ieee_mode 1
		.amdhsa_fp16_overflow 0
		.amdhsa_exception_fp_ieee_invalid_op 0
		.amdhsa_exception_fp_denorm_src 0
		.amdhsa_exception_fp_ieee_div_zero 0
		.amdhsa_exception_fp_ieee_overflow 0
		.amdhsa_exception_fp_ieee_underflow 0
		.amdhsa_exception_fp_ieee_inexact 0
		.amdhsa_exception_int_div_zero 0
	.end_amdhsa_kernel
	.section	.text._ZL9mul_mat_fI7__half2Li32ELi3ELi4ELb1EEvPKT_PKfPKiPfiiiiiiiiiiiiiiii,"axG",@progbits,_ZL9mul_mat_fI7__half2Li32ELi3ELi4ELb1EEvPKT_PKfPKiPfiiiiiiiiiiiiiiii,comdat
.Lfunc_end37:
	.size	_ZL9mul_mat_fI7__half2Li32ELi3ELi4ELb1EEvPKT_PKfPKiPfiiiiiiiiiiiiiiii, .Lfunc_end37-_ZL9mul_mat_fI7__half2Li32ELi3ELi4ELb1EEvPKT_PKfPKiPfiiiiiiiiiiiiiiii
                                        ; -- End function
	.set _ZL9mul_mat_fI7__half2Li32ELi3ELi4ELb1EEvPKT_PKfPKiPfiiiiiiiiiiiiiiii.num_vgpr, max(3, .L_ZL14no_device_codePKciS0_iS0_.num_vgpr)
	.set _ZL9mul_mat_fI7__half2Li32ELi3ELi4ELb1EEvPKT_PKfPKiPfiiiiiiiiiiiiiiii.num_agpr, max(0, .L_ZL14no_device_codePKciS0_iS0_.num_agpr)
	.set _ZL9mul_mat_fI7__half2Li32ELi3ELi4ELb1EEvPKT_PKfPKiPfiiiiiiiiiiiiiiii.numbered_sgpr, max(33, .L_ZL14no_device_codePKciS0_iS0_.numbered_sgpr)
	.set _ZL9mul_mat_fI7__half2Li32ELi3ELi4ELb1EEvPKT_PKfPKiPfiiiiiiiiiiiiiiii.num_named_barrier, max(0, .L_ZL14no_device_codePKciS0_iS0_.num_named_barrier)
	.set _ZL9mul_mat_fI7__half2Li32ELi3ELi4ELb1EEvPKT_PKfPKiPfiiiiiiiiiiiiiiii.private_seg_size, 0+max(.L_ZL14no_device_codePKciS0_iS0_.private_seg_size)
	.set _ZL9mul_mat_fI7__half2Li32ELi3ELi4ELb1EEvPKT_PKfPKiPfiiiiiiiiiiiiiiii.uses_vcc, or(1, .L_ZL14no_device_codePKciS0_iS0_.uses_vcc)
	.set _ZL9mul_mat_fI7__half2Li32ELi3ELi4ELb1EEvPKT_PKfPKiPfiiiiiiiiiiiiiiii.uses_flat_scratch, or(0, .L_ZL14no_device_codePKciS0_iS0_.uses_flat_scratch)
	.set _ZL9mul_mat_fI7__half2Li32ELi3ELi4ELb1EEvPKT_PKfPKiPfiiiiiiiiiiiiiiii.has_dyn_sized_stack, or(0, .L_ZL14no_device_codePKciS0_iS0_.has_dyn_sized_stack)
	.set _ZL9mul_mat_fI7__half2Li32ELi3ELi4ELb1EEvPKT_PKfPKiPfiiiiiiiiiiiiiiii.has_recursion, or(0, .L_ZL14no_device_codePKciS0_iS0_.has_recursion)
	.set _ZL9mul_mat_fI7__half2Li32ELi3ELi4ELb1EEvPKT_PKfPKiPfiiiiiiiiiiiiiiii.has_indirect_call, or(0, .L_ZL14no_device_codePKciS0_iS0_.has_indirect_call)
	.section	.AMDGPU.csdata,"",@progbits
; Kernel info:
; codeLenInByte = 84
; TotalNumSgprs: 38
; NumVgprs: 38
; ScratchSize: 16
; MemoryBound: 0
; FloatMode: 240
; IeeeMode: 1
; LDSByteSize: 0 bytes/workgroup (compile time only)
; SGPRBlocks: 4
; VGPRBlocks: 9
; NumSGPRsForWavesPerEU: 38
; NumVGPRsForWavesPerEU: 38
; Occupancy: 6
; WaveLimiterHint : 1
; COMPUTE_PGM_RSRC2:SCRATCH_EN: 1
; COMPUTE_PGM_RSRC2:USER_SGPR: 6
; COMPUTE_PGM_RSRC2:TRAP_HANDLER: 0
; COMPUTE_PGM_RSRC2:TGID_X_EN: 1
; COMPUTE_PGM_RSRC2:TGID_Y_EN: 0
; COMPUTE_PGM_RSRC2:TGID_Z_EN: 0
; COMPUTE_PGM_RSRC2:TIDIG_COMP_CNT: 0
	.section	.text._ZL9mul_mat_fI7__half2Li32ELi3ELi4ELb0EEvPKT_PKfPKiPfiiiiiiiiiiiiiiii,"axG",@progbits,_ZL9mul_mat_fI7__half2Li32ELi3ELi4ELb0EEvPKT_PKfPKiPfiiiiiiiiiiiiiiii,comdat
	.globl	_ZL9mul_mat_fI7__half2Li32ELi3ELi4ELb0EEvPKT_PKfPKiPfiiiiiiiiiiiiiiii ; -- Begin function _ZL9mul_mat_fI7__half2Li32ELi3ELi4ELb0EEvPKT_PKfPKiPfiiiiiiiiiiiiiiii
	.p2align	8
	.type	_ZL9mul_mat_fI7__half2Li32ELi3ELi4ELb0EEvPKT_PKfPKiPfiiiiiiiiiiiiiiii,@function
_ZL9mul_mat_fI7__half2Li32ELi3ELi4ELb0EEvPKT_PKfPKiPfiiiiiiiiiiiiiiii: ; @_ZL9mul_mat_fI7__half2Li32ELi3ELi4ELb0EEvPKT_PKfPKiPfiiiiiiiiiiiiiiii
; %bb.0:
	s_add_u32 s0, s0, s7
	s_addc_u32 s1, s1, 0
	s_add_u32 s8, s4, 0x60
	s_addc_u32 s9, s5, 0
	s_getpc_b64 s[4:5]
	s_add_u32 s4, s4, __FUNCTION__._ZL9mul_mat_fIfLi32ELi3ELi1ELb1EEvPKT_PKfPKiPfiiiiiiiiiiiiiiii@rel32@lo+4
	s_addc_u32 s5, s5, __FUNCTION__._ZL9mul_mat_fIfLi32ELi3ELi1ELb1EEvPKT_PKfPKiPfiiiiiiiiiiiiiiii@rel32@hi+12
	s_getpc_b64 s[6:7]
	s_add_u32 s6, s6, _ZL14no_device_codePKciS0_iS0_@rel32@lo+4
	s_addc_u32 s7, s7, _ZL14no_device_codePKciS0_iS0_@rel32@hi+12
	v_mov_b32_e32 v0, 0x124
	v_mov_b32_e32 v1, s4
	;; [unrolled: 1-line block ×3, first 2 shown]
	s_mov_b32 s32, 0
	s_swappc_b64 s[30:31], s[6:7]
	.section	.rodata,"a",@progbits
	.p2align	6, 0x0
	.amdhsa_kernel _ZL9mul_mat_fI7__half2Li32ELi3ELi4ELb0EEvPKT_PKfPKiPfiiiiiiiiiiiiiiii
		.amdhsa_group_segment_fixed_size 0
		.amdhsa_private_segment_fixed_size 16
		.amdhsa_kernarg_size 352
		.amdhsa_user_sgpr_count 6
		.amdhsa_user_sgpr_private_segment_buffer 1
		.amdhsa_user_sgpr_dispatch_ptr 0
		.amdhsa_user_sgpr_queue_ptr 0
		.amdhsa_user_sgpr_kernarg_segment_ptr 1
		.amdhsa_user_sgpr_dispatch_id 0
		.amdhsa_user_sgpr_flat_scratch_init 0
		.amdhsa_user_sgpr_private_segment_size 0
		.amdhsa_uses_dynamic_stack 0
		.amdhsa_system_sgpr_private_segment_wavefront_offset 1
		.amdhsa_system_sgpr_workgroup_id_x 1
		.amdhsa_system_sgpr_workgroup_id_y 0
		.amdhsa_system_sgpr_workgroup_id_z 0
		.amdhsa_system_sgpr_workgroup_info 0
		.amdhsa_system_vgpr_workitem_id 0
		.amdhsa_next_free_vgpr 38
		.amdhsa_next_free_sgpr 34
		.amdhsa_reserve_vcc 1
		.amdhsa_reserve_flat_scratch 0
		.amdhsa_float_round_mode_32 0
		.amdhsa_float_round_mode_16_64 0
		.amdhsa_float_denorm_mode_32 3
		.amdhsa_float_denorm_mode_16_64 3
		.amdhsa_dx10_clamp 1
		.amdhsa_ieee_mode 1
		.amdhsa_fp16_overflow 0
		.amdhsa_exception_fp_ieee_invalid_op 0
		.amdhsa_exception_fp_denorm_src 0
		.amdhsa_exception_fp_ieee_div_zero 0
		.amdhsa_exception_fp_ieee_overflow 0
		.amdhsa_exception_fp_ieee_underflow 0
		.amdhsa_exception_fp_ieee_inexact 0
		.amdhsa_exception_int_div_zero 0
	.end_amdhsa_kernel
	.section	.text._ZL9mul_mat_fI7__half2Li32ELi3ELi4ELb0EEvPKT_PKfPKiPfiiiiiiiiiiiiiiii,"axG",@progbits,_ZL9mul_mat_fI7__half2Li32ELi3ELi4ELb0EEvPKT_PKfPKiPfiiiiiiiiiiiiiiii,comdat
.Lfunc_end38:
	.size	_ZL9mul_mat_fI7__half2Li32ELi3ELi4ELb0EEvPKT_PKfPKiPfiiiiiiiiiiiiiiii, .Lfunc_end38-_ZL9mul_mat_fI7__half2Li32ELi3ELi4ELb0EEvPKT_PKfPKiPfiiiiiiiiiiiiiiii
                                        ; -- End function
	.set _ZL9mul_mat_fI7__half2Li32ELi3ELi4ELb0EEvPKT_PKfPKiPfiiiiiiiiiiiiiiii.num_vgpr, max(3, .L_ZL14no_device_codePKciS0_iS0_.num_vgpr)
	.set _ZL9mul_mat_fI7__half2Li32ELi3ELi4ELb0EEvPKT_PKfPKiPfiiiiiiiiiiiiiiii.num_agpr, max(0, .L_ZL14no_device_codePKciS0_iS0_.num_agpr)
	.set _ZL9mul_mat_fI7__half2Li32ELi3ELi4ELb0EEvPKT_PKfPKiPfiiiiiiiiiiiiiiii.numbered_sgpr, max(33, .L_ZL14no_device_codePKciS0_iS0_.numbered_sgpr)
	.set _ZL9mul_mat_fI7__half2Li32ELi3ELi4ELb0EEvPKT_PKfPKiPfiiiiiiiiiiiiiiii.num_named_barrier, max(0, .L_ZL14no_device_codePKciS0_iS0_.num_named_barrier)
	.set _ZL9mul_mat_fI7__half2Li32ELi3ELi4ELb0EEvPKT_PKfPKiPfiiiiiiiiiiiiiiii.private_seg_size, 0+max(.L_ZL14no_device_codePKciS0_iS0_.private_seg_size)
	.set _ZL9mul_mat_fI7__half2Li32ELi3ELi4ELb0EEvPKT_PKfPKiPfiiiiiiiiiiiiiiii.uses_vcc, or(1, .L_ZL14no_device_codePKciS0_iS0_.uses_vcc)
	.set _ZL9mul_mat_fI7__half2Li32ELi3ELi4ELb0EEvPKT_PKfPKiPfiiiiiiiiiiiiiiii.uses_flat_scratch, or(0, .L_ZL14no_device_codePKciS0_iS0_.uses_flat_scratch)
	.set _ZL9mul_mat_fI7__half2Li32ELi3ELi4ELb0EEvPKT_PKfPKiPfiiiiiiiiiiiiiiii.has_dyn_sized_stack, or(0, .L_ZL14no_device_codePKciS0_iS0_.has_dyn_sized_stack)
	.set _ZL9mul_mat_fI7__half2Li32ELi3ELi4ELb0EEvPKT_PKfPKiPfiiiiiiiiiiiiiiii.has_recursion, or(0, .L_ZL14no_device_codePKciS0_iS0_.has_recursion)
	.set _ZL9mul_mat_fI7__half2Li32ELi3ELi4ELb0EEvPKT_PKfPKiPfiiiiiiiiiiiiiiii.has_indirect_call, or(0, .L_ZL14no_device_codePKciS0_iS0_.has_indirect_call)
	.section	.AMDGPU.csdata,"",@progbits
; Kernel info:
; codeLenInByte = 84
; TotalNumSgprs: 38
; NumVgprs: 38
; ScratchSize: 16
; MemoryBound: 0
; FloatMode: 240
; IeeeMode: 1
; LDSByteSize: 0 bytes/workgroup (compile time only)
; SGPRBlocks: 4
; VGPRBlocks: 9
; NumSGPRsForWavesPerEU: 38
; NumVGPRsForWavesPerEU: 38
; Occupancy: 6
; WaveLimiterHint : 1
; COMPUTE_PGM_RSRC2:SCRATCH_EN: 1
; COMPUTE_PGM_RSRC2:USER_SGPR: 6
; COMPUTE_PGM_RSRC2:TRAP_HANDLER: 0
; COMPUTE_PGM_RSRC2:TGID_X_EN: 1
; COMPUTE_PGM_RSRC2:TGID_Y_EN: 0
; COMPUTE_PGM_RSRC2:TGID_Z_EN: 0
; COMPUTE_PGM_RSRC2:TIDIG_COMP_CNT: 0
	.section	.text._ZL13mul_mat_f_idsI7__half2Li32ELi3ELi5EEvPKT_PKfPKiS7_S7_Pfiiiiiiiiiiiiii15HIP_vector_typeIjLj3EESA_,"axG",@progbits,_ZL13mul_mat_f_idsI7__half2Li32ELi3ELi5EEvPKT_PKfPKiS7_S7_Pfiiiiiiiiiiiiii15HIP_vector_typeIjLj3EESA_,comdat
	.globl	_ZL13mul_mat_f_idsI7__half2Li32ELi3ELi5EEvPKT_PKfPKiS7_S7_Pfiiiiiiiiiiiiii15HIP_vector_typeIjLj3EESA_ ; -- Begin function _ZL13mul_mat_f_idsI7__half2Li32ELi3ELi5EEvPKT_PKfPKiS7_S7_Pfiiiiiiiiiiiiii15HIP_vector_typeIjLj3EESA_
	.p2align	8
	.type	_ZL13mul_mat_f_idsI7__half2Li32ELi3ELi5EEvPKT_PKfPKiS7_S7_Pfiiiiiiiiiiiiii15HIP_vector_typeIjLj3EESA_,@function
_ZL13mul_mat_f_idsI7__half2Li32ELi3ELi5EEvPKT_PKfPKiS7_S7_Pfiiiiiiiiiiiiii15HIP_vector_typeIjLj3EESA_: ; @_ZL13mul_mat_f_idsI7__half2Li32ELi3ELi5EEvPKT_PKfPKiS7_S7_Pfiiiiiiiiiiiiii15HIP_vector_typeIjLj3EESA_
; %bb.0:
	s_add_u32 s0, s0, s7
	s_addc_u32 s1, s1, 0
	s_add_u32 s8, s4, 0x80
	s_addc_u32 s9, s5, 0
	s_getpc_b64 s[4:5]
	s_add_u32 s4, s4, __FUNCTION__._ZL13mul_mat_f_idsIfLi32ELi3ELi1EEvPKT_PKfPKiS6_S6_Pfiiiiiiiiiiiiii15HIP_vector_typeIjLj3EES9_@rel32@lo+4
	s_addc_u32 s5, s5, __FUNCTION__._ZL13mul_mat_f_idsIfLi32ELi3ELi1EEvPKT_PKfPKiS6_S6_Pfiiiiiiiiiiiiii15HIP_vector_typeIjLj3EES9_@rel32@hi+12
	s_getpc_b64 s[6:7]
	s_add_u32 s6, s6, _ZL14no_device_codePKciS0_iS0_@rel32@lo+4
	s_addc_u32 s7, s7, _ZL14no_device_codePKciS0_iS0_@rel32@hi+12
	v_mov_b32_e32 v0, 0x238
	v_mov_b32_e32 v1, s4
	;; [unrolled: 1-line block ×3, first 2 shown]
	s_mov_b32 s32, 0
	s_swappc_b64 s[30:31], s[6:7]
	.section	.rodata,"a",@progbits
	.p2align	6, 0x0
	.amdhsa_kernel _ZL13mul_mat_f_idsI7__half2Li32ELi3ELi5EEvPKT_PKfPKiS7_S7_Pfiiiiiiiiiiiiii15HIP_vector_typeIjLj3EESA_
		.amdhsa_group_segment_fixed_size 0
		.amdhsa_private_segment_fixed_size 16
		.amdhsa_kernarg_size 384
		.amdhsa_user_sgpr_count 6
		.amdhsa_user_sgpr_private_segment_buffer 1
		.amdhsa_user_sgpr_dispatch_ptr 0
		.amdhsa_user_sgpr_queue_ptr 0
		.amdhsa_user_sgpr_kernarg_segment_ptr 1
		.amdhsa_user_sgpr_dispatch_id 0
		.amdhsa_user_sgpr_flat_scratch_init 0
		.amdhsa_user_sgpr_private_segment_size 0
		.amdhsa_uses_dynamic_stack 0
		.amdhsa_system_sgpr_private_segment_wavefront_offset 1
		.amdhsa_system_sgpr_workgroup_id_x 1
		.amdhsa_system_sgpr_workgroup_id_y 0
		.amdhsa_system_sgpr_workgroup_id_z 0
		.amdhsa_system_sgpr_workgroup_info 0
		.amdhsa_system_vgpr_workitem_id 0
		.amdhsa_next_free_vgpr 38
		.amdhsa_next_free_sgpr 34
		.amdhsa_reserve_vcc 1
		.amdhsa_reserve_flat_scratch 0
		.amdhsa_float_round_mode_32 0
		.amdhsa_float_round_mode_16_64 0
		.amdhsa_float_denorm_mode_32 3
		.amdhsa_float_denorm_mode_16_64 3
		.amdhsa_dx10_clamp 1
		.amdhsa_ieee_mode 1
		.amdhsa_fp16_overflow 0
		.amdhsa_exception_fp_ieee_invalid_op 0
		.amdhsa_exception_fp_denorm_src 0
		.amdhsa_exception_fp_ieee_div_zero 0
		.amdhsa_exception_fp_ieee_overflow 0
		.amdhsa_exception_fp_ieee_underflow 0
		.amdhsa_exception_fp_ieee_inexact 0
		.amdhsa_exception_int_div_zero 0
	.end_amdhsa_kernel
	.section	.text._ZL13mul_mat_f_idsI7__half2Li32ELi3ELi5EEvPKT_PKfPKiS7_S7_Pfiiiiiiiiiiiiii15HIP_vector_typeIjLj3EESA_,"axG",@progbits,_ZL13mul_mat_f_idsI7__half2Li32ELi3ELi5EEvPKT_PKfPKiS7_S7_Pfiiiiiiiiiiiiii15HIP_vector_typeIjLj3EESA_,comdat
.Lfunc_end39:
	.size	_ZL13mul_mat_f_idsI7__half2Li32ELi3ELi5EEvPKT_PKfPKiS7_S7_Pfiiiiiiiiiiiiii15HIP_vector_typeIjLj3EESA_, .Lfunc_end39-_ZL13mul_mat_f_idsI7__half2Li32ELi3ELi5EEvPKT_PKfPKiS7_S7_Pfiiiiiiiiiiiiii15HIP_vector_typeIjLj3EESA_
                                        ; -- End function
	.set _ZL13mul_mat_f_idsI7__half2Li32ELi3ELi5EEvPKT_PKfPKiS7_S7_Pfiiiiiiiiiiiiii15HIP_vector_typeIjLj3EESA_.num_vgpr, max(3, .L_ZL14no_device_codePKciS0_iS0_.num_vgpr)
	.set _ZL13mul_mat_f_idsI7__half2Li32ELi3ELi5EEvPKT_PKfPKiS7_S7_Pfiiiiiiiiiiiiii15HIP_vector_typeIjLj3EESA_.num_agpr, max(0, .L_ZL14no_device_codePKciS0_iS0_.num_agpr)
	.set _ZL13mul_mat_f_idsI7__half2Li32ELi3ELi5EEvPKT_PKfPKiS7_S7_Pfiiiiiiiiiiiiii15HIP_vector_typeIjLj3EESA_.numbered_sgpr, max(33, .L_ZL14no_device_codePKciS0_iS0_.numbered_sgpr)
	.set _ZL13mul_mat_f_idsI7__half2Li32ELi3ELi5EEvPKT_PKfPKiS7_S7_Pfiiiiiiiiiiiiii15HIP_vector_typeIjLj3EESA_.num_named_barrier, max(0, .L_ZL14no_device_codePKciS0_iS0_.num_named_barrier)
	.set _ZL13mul_mat_f_idsI7__half2Li32ELi3ELi5EEvPKT_PKfPKiS7_S7_Pfiiiiiiiiiiiiii15HIP_vector_typeIjLj3EESA_.private_seg_size, 0+max(.L_ZL14no_device_codePKciS0_iS0_.private_seg_size)
	.set _ZL13mul_mat_f_idsI7__half2Li32ELi3ELi5EEvPKT_PKfPKiS7_S7_Pfiiiiiiiiiiiiii15HIP_vector_typeIjLj3EESA_.uses_vcc, or(1, .L_ZL14no_device_codePKciS0_iS0_.uses_vcc)
	.set _ZL13mul_mat_f_idsI7__half2Li32ELi3ELi5EEvPKT_PKfPKiS7_S7_Pfiiiiiiiiiiiiii15HIP_vector_typeIjLj3EESA_.uses_flat_scratch, or(0, .L_ZL14no_device_codePKciS0_iS0_.uses_flat_scratch)
	.set _ZL13mul_mat_f_idsI7__half2Li32ELi3ELi5EEvPKT_PKfPKiS7_S7_Pfiiiiiiiiiiiiii15HIP_vector_typeIjLj3EESA_.has_dyn_sized_stack, or(0, .L_ZL14no_device_codePKciS0_iS0_.has_dyn_sized_stack)
	.set _ZL13mul_mat_f_idsI7__half2Li32ELi3ELi5EEvPKT_PKfPKiS7_S7_Pfiiiiiiiiiiiiii15HIP_vector_typeIjLj3EESA_.has_recursion, or(0, .L_ZL14no_device_codePKciS0_iS0_.has_recursion)
	.set _ZL13mul_mat_f_idsI7__half2Li32ELi3ELi5EEvPKT_PKfPKiS7_S7_Pfiiiiiiiiiiiiii15HIP_vector_typeIjLj3EESA_.has_indirect_call, or(0, .L_ZL14no_device_codePKciS0_iS0_.has_indirect_call)
	.section	.AMDGPU.csdata,"",@progbits
; Kernel info:
; codeLenInByte = 84
; TotalNumSgprs: 38
; NumVgprs: 38
; ScratchSize: 16
; MemoryBound: 0
; FloatMode: 240
; IeeeMode: 1
; LDSByteSize: 0 bytes/workgroup (compile time only)
; SGPRBlocks: 4
; VGPRBlocks: 9
; NumSGPRsForWavesPerEU: 38
; NumVGPRsForWavesPerEU: 38
; Occupancy: 6
; WaveLimiterHint : 1
; COMPUTE_PGM_RSRC2:SCRATCH_EN: 1
; COMPUTE_PGM_RSRC2:USER_SGPR: 6
; COMPUTE_PGM_RSRC2:TRAP_HANDLER: 0
; COMPUTE_PGM_RSRC2:TGID_X_EN: 1
; COMPUTE_PGM_RSRC2:TGID_Y_EN: 0
; COMPUTE_PGM_RSRC2:TGID_Z_EN: 0
; COMPUTE_PGM_RSRC2:TIDIG_COMP_CNT: 0
	.section	.text._ZL9mul_mat_fI7__half2Li32ELi3ELi5ELb1EEvPKT_PKfPKiPfiiiiiiiiiiiiiiii,"axG",@progbits,_ZL9mul_mat_fI7__half2Li32ELi3ELi5ELb1EEvPKT_PKfPKiPfiiiiiiiiiiiiiiii,comdat
	.globl	_ZL9mul_mat_fI7__half2Li32ELi3ELi5ELb1EEvPKT_PKfPKiPfiiiiiiiiiiiiiiii ; -- Begin function _ZL9mul_mat_fI7__half2Li32ELi3ELi5ELb1EEvPKT_PKfPKiPfiiiiiiiiiiiiiiii
	.p2align	8
	.type	_ZL9mul_mat_fI7__half2Li32ELi3ELi5ELb1EEvPKT_PKfPKiPfiiiiiiiiiiiiiiii,@function
_ZL9mul_mat_fI7__half2Li32ELi3ELi5ELb1EEvPKT_PKfPKiPfiiiiiiiiiiiiiiii: ; @_ZL9mul_mat_fI7__half2Li32ELi3ELi5ELb1EEvPKT_PKfPKiPfiiiiiiiiiiiiiiii
; %bb.0:
	s_add_u32 s0, s0, s7
	s_addc_u32 s1, s1, 0
	s_add_u32 s8, s4, 0x60
	s_addc_u32 s9, s5, 0
	s_getpc_b64 s[4:5]
	s_add_u32 s4, s4, __FUNCTION__._ZL9mul_mat_fIfLi32ELi3ELi1ELb1EEvPKT_PKfPKiPfiiiiiiiiiiiiiiii@rel32@lo+4
	s_addc_u32 s5, s5, __FUNCTION__._ZL9mul_mat_fIfLi32ELi3ELi1ELb1EEvPKT_PKfPKiPfiiiiiiiiiiiiiiii@rel32@hi+12
	s_getpc_b64 s[6:7]
	s_add_u32 s6, s6, _ZL14no_device_codePKciS0_iS0_@rel32@lo+4
	s_addc_u32 s7, s7, _ZL14no_device_codePKciS0_iS0_@rel32@hi+12
	v_mov_b32_e32 v0, 0x124
	v_mov_b32_e32 v1, s4
	;; [unrolled: 1-line block ×3, first 2 shown]
	s_mov_b32 s32, 0
	s_swappc_b64 s[30:31], s[6:7]
	.section	.rodata,"a",@progbits
	.p2align	6, 0x0
	.amdhsa_kernel _ZL9mul_mat_fI7__half2Li32ELi3ELi5ELb1EEvPKT_PKfPKiPfiiiiiiiiiiiiiiii
		.amdhsa_group_segment_fixed_size 0
		.amdhsa_private_segment_fixed_size 16
		.amdhsa_kernarg_size 352
		.amdhsa_user_sgpr_count 6
		.amdhsa_user_sgpr_private_segment_buffer 1
		.amdhsa_user_sgpr_dispatch_ptr 0
		.amdhsa_user_sgpr_queue_ptr 0
		.amdhsa_user_sgpr_kernarg_segment_ptr 1
		.amdhsa_user_sgpr_dispatch_id 0
		.amdhsa_user_sgpr_flat_scratch_init 0
		.amdhsa_user_sgpr_private_segment_size 0
		.amdhsa_uses_dynamic_stack 0
		.amdhsa_system_sgpr_private_segment_wavefront_offset 1
		.amdhsa_system_sgpr_workgroup_id_x 1
		.amdhsa_system_sgpr_workgroup_id_y 0
		.amdhsa_system_sgpr_workgroup_id_z 0
		.amdhsa_system_sgpr_workgroup_info 0
		.amdhsa_system_vgpr_workitem_id 0
		.amdhsa_next_free_vgpr 38
		.amdhsa_next_free_sgpr 34
		.amdhsa_reserve_vcc 1
		.amdhsa_reserve_flat_scratch 0
		.amdhsa_float_round_mode_32 0
		.amdhsa_float_round_mode_16_64 0
		.amdhsa_float_denorm_mode_32 3
		.amdhsa_float_denorm_mode_16_64 3
		.amdhsa_dx10_clamp 1
		.amdhsa_ieee_mode 1
		.amdhsa_fp16_overflow 0
		.amdhsa_exception_fp_ieee_invalid_op 0
		.amdhsa_exception_fp_denorm_src 0
		.amdhsa_exception_fp_ieee_div_zero 0
		.amdhsa_exception_fp_ieee_overflow 0
		.amdhsa_exception_fp_ieee_underflow 0
		.amdhsa_exception_fp_ieee_inexact 0
		.amdhsa_exception_int_div_zero 0
	.end_amdhsa_kernel
	.section	.text._ZL9mul_mat_fI7__half2Li32ELi3ELi5ELb1EEvPKT_PKfPKiPfiiiiiiiiiiiiiiii,"axG",@progbits,_ZL9mul_mat_fI7__half2Li32ELi3ELi5ELb1EEvPKT_PKfPKiPfiiiiiiiiiiiiiiii,comdat
.Lfunc_end40:
	.size	_ZL9mul_mat_fI7__half2Li32ELi3ELi5ELb1EEvPKT_PKfPKiPfiiiiiiiiiiiiiiii, .Lfunc_end40-_ZL9mul_mat_fI7__half2Li32ELi3ELi5ELb1EEvPKT_PKfPKiPfiiiiiiiiiiiiiiii
                                        ; -- End function
	.set _ZL9mul_mat_fI7__half2Li32ELi3ELi5ELb1EEvPKT_PKfPKiPfiiiiiiiiiiiiiiii.num_vgpr, max(3, .L_ZL14no_device_codePKciS0_iS0_.num_vgpr)
	.set _ZL9mul_mat_fI7__half2Li32ELi3ELi5ELb1EEvPKT_PKfPKiPfiiiiiiiiiiiiiiii.num_agpr, max(0, .L_ZL14no_device_codePKciS0_iS0_.num_agpr)
	.set _ZL9mul_mat_fI7__half2Li32ELi3ELi5ELb1EEvPKT_PKfPKiPfiiiiiiiiiiiiiiii.numbered_sgpr, max(33, .L_ZL14no_device_codePKciS0_iS0_.numbered_sgpr)
	.set _ZL9mul_mat_fI7__half2Li32ELi3ELi5ELb1EEvPKT_PKfPKiPfiiiiiiiiiiiiiiii.num_named_barrier, max(0, .L_ZL14no_device_codePKciS0_iS0_.num_named_barrier)
	.set _ZL9mul_mat_fI7__half2Li32ELi3ELi5ELb1EEvPKT_PKfPKiPfiiiiiiiiiiiiiiii.private_seg_size, 0+max(.L_ZL14no_device_codePKciS0_iS0_.private_seg_size)
	.set _ZL9mul_mat_fI7__half2Li32ELi3ELi5ELb1EEvPKT_PKfPKiPfiiiiiiiiiiiiiiii.uses_vcc, or(1, .L_ZL14no_device_codePKciS0_iS0_.uses_vcc)
	.set _ZL9mul_mat_fI7__half2Li32ELi3ELi5ELb1EEvPKT_PKfPKiPfiiiiiiiiiiiiiiii.uses_flat_scratch, or(0, .L_ZL14no_device_codePKciS0_iS0_.uses_flat_scratch)
	.set _ZL9mul_mat_fI7__half2Li32ELi3ELi5ELb1EEvPKT_PKfPKiPfiiiiiiiiiiiiiiii.has_dyn_sized_stack, or(0, .L_ZL14no_device_codePKciS0_iS0_.has_dyn_sized_stack)
	.set _ZL9mul_mat_fI7__half2Li32ELi3ELi5ELb1EEvPKT_PKfPKiPfiiiiiiiiiiiiiiii.has_recursion, or(0, .L_ZL14no_device_codePKciS0_iS0_.has_recursion)
	.set _ZL9mul_mat_fI7__half2Li32ELi3ELi5ELb1EEvPKT_PKfPKiPfiiiiiiiiiiiiiiii.has_indirect_call, or(0, .L_ZL14no_device_codePKciS0_iS0_.has_indirect_call)
	.section	.AMDGPU.csdata,"",@progbits
; Kernel info:
; codeLenInByte = 84
; TotalNumSgprs: 38
; NumVgprs: 38
; ScratchSize: 16
; MemoryBound: 0
; FloatMode: 240
; IeeeMode: 1
; LDSByteSize: 0 bytes/workgroup (compile time only)
; SGPRBlocks: 4
; VGPRBlocks: 9
; NumSGPRsForWavesPerEU: 38
; NumVGPRsForWavesPerEU: 38
; Occupancy: 6
; WaveLimiterHint : 1
; COMPUTE_PGM_RSRC2:SCRATCH_EN: 1
; COMPUTE_PGM_RSRC2:USER_SGPR: 6
; COMPUTE_PGM_RSRC2:TRAP_HANDLER: 0
; COMPUTE_PGM_RSRC2:TGID_X_EN: 1
; COMPUTE_PGM_RSRC2:TGID_Y_EN: 0
; COMPUTE_PGM_RSRC2:TGID_Z_EN: 0
; COMPUTE_PGM_RSRC2:TIDIG_COMP_CNT: 0
	.section	.text._ZL9mul_mat_fI7__half2Li32ELi3ELi5ELb0EEvPKT_PKfPKiPfiiiiiiiiiiiiiiii,"axG",@progbits,_ZL9mul_mat_fI7__half2Li32ELi3ELi5ELb0EEvPKT_PKfPKiPfiiiiiiiiiiiiiiii,comdat
	.globl	_ZL9mul_mat_fI7__half2Li32ELi3ELi5ELb0EEvPKT_PKfPKiPfiiiiiiiiiiiiiiii ; -- Begin function _ZL9mul_mat_fI7__half2Li32ELi3ELi5ELb0EEvPKT_PKfPKiPfiiiiiiiiiiiiiiii
	.p2align	8
	.type	_ZL9mul_mat_fI7__half2Li32ELi3ELi5ELb0EEvPKT_PKfPKiPfiiiiiiiiiiiiiiii,@function
_ZL9mul_mat_fI7__half2Li32ELi3ELi5ELb0EEvPKT_PKfPKiPfiiiiiiiiiiiiiiii: ; @_ZL9mul_mat_fI7__half2Li32ELi3ELi5ELb0EEvPKT_PKfPKiPfiiiiiiiiiiiiiiii
; %bb.0:
	s_add_u32 s0, s0, s7
	s_addc_u32 s1, s1, 0
	s_add_u32 s8, s4, 0x60
	s_addc_u32 s9, s5, 0
	s_getpc_b64 s[4:5]
	s_add_u32 s4, s4, __FUNCTION__._ZL9mul_mat_fIfLi32ELi3ELi1ELb1EEvPKT_PKfPKiPfiiiiiiiiiiiiiiii@rel32@lo+4
	s_addc_u32 s5, s5, __FUNCTION__._ZL9mul_mat_fIfLi32ELi3ELi1ELb1EEvPKT_PKfPKiPfiiiiiiiiiiiiiiii@rel32@hi+12
	s_getpc_b64 s[6:7]
	s_add_u32 s6, s6, _ZL14no_device_codePKciS0_iS0_@rel32@lo+4
	s_addc_u32 s7, s7, _ZL14no_device_codePKciS0_iS0_@rel32@hi+12
	v_mov_b32_e32 v0, 0x124
	v_mov_b32_e32 v1, s4
	;; [unrolled: 1-line block ×3, first 2 shown]
	s_mov_b32 s32, 0
	s_swappc_b64 s[30:31], s[6:7]
	.section	.rodata,"a",@progbits
	.p2align	6, 0x0
	.amdhsa_kernel _ZL9mul_mat_fI7__half2Li32ELi3ELi5ELb0EEvPKT_PKfPKiPfiiiiiiiiiiiiiiii
		.amdhsa_group_segment_fixed_size 0
		.amdhsa_private_segment_fixed_size 16
		.amdhsa_kernarg_size 352
		.amdhsa_user_sgpr_count 6
		.amdhsa_user_sgpr_private_segment_buffer 1
		.amdhsa_user_sgpr_dispatch_ptr 0
		.amdhsa_user_sgpr_queue_ptr 0
		.amdhsa_user_sgpr_kernarg_segment_ptr 1
		.amdhsa_user_sgpr_dispatch_id 0
		.amdhsa_user_sgpr_flat_scratch_init 0
		.amdhsa_user_sgpr_private_segment_size 0
		.amdhsa_uses_dynamic_stack 0
		.amdhsa_system_sgpr_private_segment_wavefront_offset 1
		.amdhsa_system_sgpr_workgroup_id_x 1
		.amdhsa_system_sgpr_workgroup_id_y 0
		.amdhsa_system_sgpr_workgroup_id_z 0
		.amdhsa_system_sgpr_workgroup_info 0
		.amdhsa_system_vgpr_workitem_id 0
		.amdhsa_next_free_vgpr 38
		.amdhsa_next_free_sgpr 34
		.amdhsa_reserve_vcc 1
		.amdhsa_reserve_flat_scratch 0
		.amdhsa_float_round_mode_32 0
		.amdhsa_float_round_mode_16_64 0
		.amdhsa_float_denorm_mode_32 3
		.amdhsa_float_denorm_mode_16_64 3
		.amdhsa_dx10_clamp 1
		.amdhsa_ieee_mode 1
		.amdhsa_fp16_overflow 0
		.amdhsa_exception_fp_ieee_invalid_op 0
		.amdhsa_exception_fp_denorm_src 0
		.amdhsa_exception_fp_ieee_div_zero 0
		.amdhsa_exception_fp_ieee_overflow 0
		.amdhsa_exception_fp_ieee_underflow 0
		.amdhsa_exception_fp_ieee_inexact 0
		.amdhsa_exception_int_div_zero 0
	.end_amdhsa_kernel
	.section	.text._ZL9mul_mat_fI7__half2Li32ELi3ELi5ELb0EEvPKT_PKfPKiPfiiiiiiiiiiiiiiii,"axG",@progbits,_ZL9mul_mat_fI7__half2Li32ELi3ELi5ELb0EEvPKT_PKfPKiPfiiiiiiiiiiiiiiii,comdat
.Lfunc_end41:
	.size	_ZL9mul_mat_fI7__half2Li32ELi3ELi5ELb0EEvPKT_PKfPKiPfiiiiiiiiiiiiiiii, .Lfunc_end41-_ZL9mul_mat_fI7__half2Li32ELi3ELi5ELb0EEvPKT_PKfPKiPfiiiiiiiiiiiiiiii
                                        ; -- End function
	.set _ZL9mul_mat_fI7__half2Li32ELi3ELi5ELb0EEvPKT_PKfPKiPfiiiiiiiiiiiiiiii.num_vgpr, max(3, .L_ZL14no_device_codePKciS0_iS0_.num_vgpr)
	.set _ZL9mul_mat_fI7__half2Li32ELi3ELi5ELb0EEvPKT_PKfPKiPfiiiiiiiiiiiiiiii.num_agpr, max(0, .L_ZL14no_device_codePKciS0_iS0_.num_agpr)
	.set _ZL9mul_mat_fI7__half2Li32ELi3ELi5ELb0EEvPKT_PKfPKiPfiiiiiiiiiiiiiiii.numbered_sgpr, max(33, .L_ZL14no_device_codePKciS0_iS0_.numbered_sgpr)
	.set _ZL9mul_mat_fI7__half2Li32ELi3ELi5ELb0EEvPKT_PKfPKiPfiiiiiiiiiiiiiiii.num_named_barrier, max(0, .L_ZL14no_device_codePKciS0_iS0_.num_named_barrier)
	.set _ZL9mul_mat_fI7__half2Li32ELi3ELi5ELb0EEvPKT_PKfPKiPfiiiiiiiiiiiiiiii.private_seg_size, 0+max(.L_ZL14no_device_codePKciS0_iS0_.private_seg_size)
	.set _ZL9mul_mat_fI7__half2Li32ELi3ELi5ELb0EEvPKT_PKfPKiPfiiiiiiiiiiiiiiii.uses_vcc, or(1, .L_ZL14no_device_codePKciS0_iS0_.uses_vcc)
	.set _ZL9mul_mat_fI7__half2Li32ELi3ELi5ELb0EEvPKT_PKfPKiPfiiiiiiiiiiiiiiii.uses_flat_scratch, or(0, .L_ZL14no_device_codePKciS0_iS0_.uses_flat_scratch)
	.set _ZL9mul_mat_fI7__half2Li32ELi3ELi5ELb0EEvPKT_PKfPKiPfiiiiiiiiiiiiiiii.has_dyn_sized_stack, or(0, .L_ZL14no_device_codePKciS0_iS0_.has_dyn_sized_stack)
	.set _ZL9mul_mat_fI7__half2Li32ELi3ELi5ELb0EEvPKT_PKfPKiPfiiiiiiiiiiiiiiii.has_recursion, or(0, .L_ZL14no_device_codePKciS0_iS0_.has_recursion)
	.set _ZL9mul_mat_fI7__half2Li32ELi3ELi5ELb0EEvPKT_PKfPKiPfiiiiiiiiiiiiiiii.has_indirect_call, or(0, .L_ZL14no_device_codePKciS0_iS0_.has_indirect_call)
	.section	.AMDGPU.csdata,"",@progbits
; Kernel info:
; codeLenInByte = 84
; TotalNumSgprs: 38
; NumVgprs: 38
; ScratchSize: 16
; MemoryBound: 0
; FloatMode: 240
; IeeeMode: 1
; LDSByteSize: 0 bytes/workgroup (compile time only)
; SGPRBlocks: 4
; VGPRBlocks: 9
; NumSGPRsForWavesPerEU: 38
; NumVGPRsForWavesPerEU: 38
; Occupancy: 6
; WaveLimiterHint : 1
; COMPUTE_PGM_RSRC2:SCRATCH_EN: 1
; COMPUTE_PGM_RSRC2:USER_SGPR: 6
; COMPUTE_PGM_RSRC2:TRAP_HANDLER: 0
; COMPUTE_PGM_RSRC2:TGID_X_EN: 1
; COMPUTE_PGM_RSRC2:TGID_Y_EN: 0
; COMPUTE_PGM_RSRC2:TGID_Z_EN: 0
; COMPUTE_PGM_RSRC2:TIDIG_COMP_CNT: 0
	.section	.text._ZL13mul_mat_f_idsI7__half2Li32ELi3ELi6EEvPKT_PKfPKiS7_S7_Pfiiiiiiiiiiiiii15HIP_vector_typeIjLj3EESA_,"axG",@progbits,_ZL13mul_mat_f_idsI7__half2Li32ELi3ELi6EEvPKT_PKfPKiS7_S7_Pfiiiiiiiiiiiiii15HIP_vector_typeIjLj3EESA_,comdat
	.globl	_ZL13mul_mat_f_idsI7__half2Li32ELi3ELi6EEvPKT_PKfPKiS7_S7_Pfiiiiiiiiiiiiii15HIP_vector_typeIjLj3EESA_ ; -- Begin function _ZL13mul_mat_f_idsI7__half2Li32ELi3ELi6EEvPKT_PKfPKiS7_S7_Pfiiiiiiiiiiiiii15HIP_vector_typeIjLj3EESA_
	.p2align	8
	.type	_ZL13mul_mat_f_idsI7__half2Li32ELi3ELi6EEvPKT_PKfPKiS7_S7_Pfiiiiiiiiiiiiii15HIP_vector_typeIjLj3EESA_,@function
_ZL13mul_mat_f_idsI7__half2Li32ELi3ELi6EEvPKT_PKfPKiS7_S7_Pfiiiiiiiiiiiiii15HIP_vector_typeIjLj3EESA_: ; @_ZL13mul_mat_f_idsI7__half2Li32ELi3ELi6EEvPKT_PKfPKiS7_S7_Pfiiiiiiiiiiiiii15HIP_vector_typeIjLj3EESA_
; %bb.0:
	s_add_u32 s0, s0, s7
	s_addc_u32 s1, s1, 0
	s_add_u32 s8, s4, 0x80
	s_addc_u32 s9, s5, 0
	s_getpc_b64 s[4:5]
	s_add_u32 s4, s4, __FUNCTION__._ZL13mul_mat_f_idsIfLi32ELi3ELi1EEvPKT_PKfPKiS6_S6_Pfiiiiiiiiiiiiii15HIP_vector_typeIjLj3EES9_@rel32@lo+4
	s_addc_u32 s5, s5, __FUNCTION__._ZL13mul_mat_f_idsIfLi32ELi3ELi1EEvPKT_PKfPKiS6_S6_Pfiiiiiiiiiiiiii15HIP_vector_typeIjLj3EES9_@rel32@hi+12
	s_getpc_b64 s[6:7]
	s_add_u32 s6, s6, _ZL14no_device_codePKciS0_iS0_@rel32@lo+4
	s_addc_u32 s7, s7, _ZL14no_device_codePKciS0_iS0_@rel32@hi+12
	v_mov_b32_e32 v0, 0x238
	v_mov_b32_e32 v1, s4
	;; [unrolled: 1-line block ×3, first 2 shown]
	s_mov_b32 s32, 0
	s_swappc_b64 s[30:31], s[6:7]
	.section	.rodata,"a",@progbits
	.p2align	6, 0x0
	.amdhsa_kernel _ZL13mul_mat_f_idsI7__half2Li32ELi3ELi6EEvPKT_PKfPKiS7_S7_Pfiiiiiiiiiiiiii15HIP_vector_typeIjLj3EESA_
		.amdhsa_group_segment_fixed_size 0
		.amdhsa_private_segment_fixed_size 16
		.amdhsa_kernarg_size 384
		.amdhsa_user_sgpr_count 6
		.amdhsa_user_sgpr_private_segment_buffer 1
		.amdhsa_user_sgpr_dispatch_ptr 0
		.amdhsa_user_sgpr_queue_ptr 0
		.amdhsa_user_sgpr_kernarg_segment_ptr 1
		.amdhsa_user_sgpr_dispatch_id 0
		.amdhsa_user_sgpr_flat_scratch_init 0
		.amdhsa_user_sgpr_private_segment_size 0
		.amdhsa_uses_dynamic_stack 0
		.amdhsa_system_sgpr_private_segment_wavefront_offset 1
		.amdhsa_system_sgpr_workgroup_id_x 1
		.amdhsa_system_sgpr_workgroup_id_y 0
		.amdhsa_system_sgpr_workgroup_id_z 0
		.amdhsa_system_sgpr_workgroup_info 0
		.amdhsa_system_vgpr_workitem_id 0
		.amdhsa_next_free_vgpr 38
		.amdhsa_next_free_sgpr 34
		.amdhsa_reserve_vcc 1
		.amdhsa_reserve_flat_scratch 0
		.amdhsa_float_round_mode_32 0
		.amdhsa_float_round_mode_16_64 0
		.amdhsa_float_denorm_mode_32 3
		.amdhsa_float_denorm_mode_16_64 3
		.amdhsa_dx10_clamp 1
		.amdhsa_ieee_mode 1
		.amdhsa_fp16_overflow 0
		.amdhsa_exception_fp_ieee_invalid_op 0
		.amdhsa_exception_fp_denorm_src 0
		.amdhsa_exception_fp_ieee_div_zero 0
		.amdhsa_exception_fp_ieee_overflow 0
		.amdhsa_exception_fp_ieee_underflow 0
		.amdhsa_exception_fp_ieee_inexact 0
		.amdhsa_exception_int_div_zero 0
	.end_amdhsa_kernel
	.section	.text._ZL13mul_mat_f_idsI7__half2Li32ELi3ELi6EEvPKT_PKfPKiS7_S7_Pfiiiiiiiiiiiiii15HIP_vector_typeIjLj3EESA_,"axG",@progbits,_ZL13mul_mat_f_idsI7__half2Li32ELi3ELi6EEvPKT_PKfPKiS7_S7_Pfiiiiiiiiiiiiii15HIP_vector_typeIjLj3EESA_,comdat
.Lfunc_end42:
	.size	_ZL13mul_mat_f_idsI7__half2Li32ELi3ELi6EEvPKT_PKfPKiS7_S7_Pfiiiiiiiiiiiiii15HIP_vector_typeIjLj3EESA_, .Lfunc_end42-_ZL13mul_mat_f_idsI7__half2Li32ELi3ELi6EEvPKT_PKfPKiS7_S7_Pfiiiiiiiiiiiiii15HIP_vector_typeIjLj3EESA_
                                        ; -- End function
	.set _ZL13mul_mat_f_idsI7__half2Li32ELi3ELi6EEvPKT_PKfPKiS7_S7_Pfiiiiiiiiiiiiii15HIP_vector_typeIjLj3EESA_.num_vgpr, max(3, .L_ZL14no_device_codePKciS0_iS0_.num_vgpr)
	.set _ZL13mul_mat_f_idsI7__half2Li32ELi3ELi6EEvPKT_PKfPKiS7_S7_Pfiiiiiiiiiiiiii15HIP_vector_typeIjLj3EESA_.num_agpr, max(0, .L_ZL14no_device_codePKciS0_iS0_.num_agpr)
	.set _ZL13mul_mat_f_idsI7__half2Li32ELi3ELi6EEvPKT_PKfPKiS7_S7_Pfiiiiiiiiiiiiii15HIP_vector_typeIjLj3EESA_.numbered_sgpr, max(33, .L_ZL14no_device_codePKciS0_iS0_.numbered_sgpr)
	.set _ZL13mul_mat_f_idsI7__half2Li32ELi3ELi6EEvPKT_PKfPKiS7_S7_Pfiiiiiiiiiiiiii15HIP_vector_typeIjLj3EESA_.num_named_barrier, max(0, .L_ZL14no_device_codePKciS0_iS0_.num_named_barrier)
	.set _ZL13mul_mat_f_idsI7__half2Li32ELi3ELi6EEvPKT_PKfPKiS7_S7_Pfiiiiiiiiiiiiii15HIP_vector_typeIjLj3EESA_.private_seg_size, 0+max(.L_ZL14no_device_codePKciS0_iS0_.private_seg_size)
	.set _ZL13mul_mat_f_idsI7__half2Li32ELi3ELi6EEvPKT_PKfPKiS7_S7_Pfiiiiiiiiiiiiii15HIP_vector_typeIjLj3EESA_.uses_vcc, or(1, .L_ZL14no_device_codePKciS0_iS0_.uses_vcc)
	.set _ZL13mul_mat_f_idsI7__half2Li32ELi3ELi6EEvPKT_PKfPKiS7_S7_Pfiiiiiiiiiiiiii15HIP_vector_typeIjLj3EESA_.uses_flat_scratch, or(0, .L_ZL14no_device_codePKciS0_iS0_.uses_flat_scratch)
	.set _ZL13mul_mat_f_idsI7__half2Li32ELi3ELi6EEvPKT_PKfPKiS7_S7_Pfiiiiiiiiiiiiii15HIP_vector_typeIjLj3EESA_.has_dyn_sized_stack, or(0, .L_ZL14no_device_codePKciS0_iS0_.has_dyn_sized_stack)
	.set _ZL13mul_mat_f_idsI7__half2Li32ELi3ELi6EEvPKT_PKfPKiS7_S7_Pfiiiiiiiiiiiiii15HIP_vector_typeIjLj3EESA_.has_recursion, or(0, .L_ZL14no_device_codePKciS0_iS0_.has_recursion)
	.set _ZL13mul_mat_f_idsI7__half2Li32ELi3ELi6EEvPKT_PKfPKiS7_S7_Pfiiiiiiiiiiiiii15HIP_vector_typeIjLj3EESA_.has_indirect_call, or(0, .L_ZL14no_device_codePKciS0_iS0_.has_indirect_call)
	.section	.AMDGPU.csdata,"",@progbits
; Kernel info:
; codeLenInByte = 84
; TotalNumSgprs: 38
; NumVgprs: 38
; ScratchSize: 16
; MemoryBound: 0
; FloatMode: 240
; IeeeMode: 1
; LDSByteSize: 0 bytes/workgroup (compile time only)
; SGPRBlocks: 4
; VGPRBlocks: 9
; NumSGPRsForWavesPerEU: 38
; NumVGPRsForWavesPerEU: 38
; Occupancy: 6
; WaveLimiterHint : 1
; COMPUTE_PGM_RSRC2:SCRATCH_EN: 1
; COMPUTE_PGM_RSRC2:USER_SGPR: 6
; COMPUTE_PGM_RSRC2:TRAP_HANDLER: 0
; COMPUTE_PGM_RSRC2:TGID_X_EN: 1
; COMPUTE_PGM_RSRC2:TGID_Y_EN: 0
; COMPUTE_PGM_RSRC2:TGID_Z_EN: 0
; COMPUTE_PGM_RSRC2:TIDIG_COMP_CNT: 0
	.section	.text._ZL9mul_mat_fI7__half2Li32ELi3ELi6ELb1EEvPKT_PKfPKiPfiiiiiiiiiiiiiiii,"axG",@progbits,_ZL9mul_mat_fI7__half2Li32ELi3ELi6ELb1EEvPKT_PKfPKiPfiiiiiiiiiiiiiiii,comdat
	.globl	_ZL9mul_mat_fI7__half2Li32ELi3ELi6ELb1EEvPKT_PKfPKiPfiiiiiiiiiiiiiiii ; -- Begin function _ZL9mul_mat_fI7__half2Li32ELi3ELi6ELb1EEvPKT_PKfPKiPfiiiiiiiiiiiiiiii
	.p2align	8
	.type	_ZL9mul_mat_fI7__half2Li32ELi3ELi6ELb1EEvPKT_PKfPKiPfiiiiiiiiiiiiiiii,@function
_ZL9mul_mat_fI7__half2Li32ELi3ELi6ELb1EEvPKT_PKfPKiPfiiiiiiiiiiiiiiii: ; @_ZL9mul_mat_fI7__half2Li32ELi3ELi6ELb1EEvPKT_PKfPKiPfiiiiiiiiiiiiiiii
; %bb.0:
	s_add_u32 s0, s0, s7
	s_addc_u32 s1, s1, 0
	s_add_u32 s8, s4, 0x60
	s_addc_u32 s9, s5, 0
	s_getpc_b64 s[4:5]
	s_add_u32 s4, s4, __FUNCTION__._ZL9mul_mat_fIfLi32ELi3ELi1ELb1EEvPKT_PKfPKiPfiiiiiiiiiiiiiiii@rel32@lo+4
	s_addc_u32 s5, s5, __FUNCTION__._ZL9mul_mat_fIfLi32ELi3ELi1ELb1EEvPKT_PKfPKiPfiiiiiiiiiiiiiiii@rel32@hi+12
	s_getpc_b64 s[6:7]
	s_add_u32 s6, s6, _ZL14no_device_codePKciS0_iS0_@rel32@lo+4
	s_addc_u32 s7, s7, _ZL14no_device_codePKciS0_iS0_@rel32@hi+12
	v_mov_b32_e32 v0, 0x124
	v_mov_b32_e32 v1, s4
	;; [unrolled: 1-line block ×3, first 2 shown]
	s_mov_b32 s32, 0
	s_swappc_b64 s[30:31], s[6:7]
	.section	.rodata,"a",@progbits
	.p2align	6, 0x0
	.amdhsa_kernel _ZL9mul_mat_fI7__half2Li32ELi3ELi6ELb1EEvPKT_PKfPKiPfiiiiiiiiiiiiiiii
		.amdhsa_group_segment_fixed_size 0
		.amdhsa_private_segment_fixed_size 16
		.amdhsa_kernarg_size 352
		.amdhsa_user_sgpr_count 6
		.amdhsa_user_sgpr_private_segment_buffer 1
		.amdhsa_user_sgpr_dispatch_ptr 0
		.amdhsa_user_sgpr_queue_ptr 0
		.amdhsa_user_sgpr_kernarg_segment_ptr 1
		.amdhsa_user_sgpr_dispatch_id 0
		.amdhsa_user_sgpr_flat_scratch_init 0
		.amdhsa_user_sgpr_private_segment_size 0
		.amdhsa_uses_dynamic_stack 0
		.amdhsa_system_sgpr_private_segment_wavefront_offset 1
		.amdhsa_system_sgpr_workgroup_id_x 1
		.amdhsa_system_sgpr_workgroup_id_y 0
		.amdhsa_system_sgpr_workgroup_id_z 0
		.amdhsa_system_sgpr_workgroup_info 0
		.amdhsa_system_vgpr_workitem_id 0
		.amdhsa_next_free_vgpr 38
		.amdhsa_next_free_sgpr 34
		.amdhsa_reserve_vcc 1
		.amdhsa_reserve_flat_scratch 0
		.amdhsa_float_round_mode_32 0
		.amdhsa_float_round_mode_16_64 0
		.amdhsa_float_denorm_mode_32 3
		.amdhsa_float_denorm_mode_16_64 3
		.amdhsa_dx10_clamp 1
		.amdhsa_ieee_mode 1
		.amdhsa_fp16_overflow 0
		.amdhsa_exception_fp_ieee_invalid_op 0
		.amdhsa_exception_fp_denorm_src 0
		.amdhsa_exception_fp_ieee_div_zero 0
		.amdhsa_exception_fp_ieee_overflow 0
		.amdhsa_exception_fp_ieee_underflow 0
		.amdhsa_exception_fp_ieee_inexact 0
		.amdhsa_exception_int_div_zero 0
	.end_amdhsa_kernel
	.section	.text._ZL9mul_mat_fI7__half2Li32ELi3ELi6ELb1EEvPKT_PKfPKiPfiiiiiiiiiiiiiiii,"axG",@progbits,_ZL9mul_mat_fI7__half2Li32ELi3ELi6ELb1EEvPKT_PKfPKiPfiiiiiiiiiiiiiiii,comdat
.Lfunc_end43:
	.size	_ZL9mul_mat_fI7__half2Li32ELi3ELi6ELb1EEvPKT_PKfPKiPfiiiiiiiiiiiiiiii, .Lfunc_end43-_ZL9mul_mat_fI7__half2Li32ELi3ELi6ELb1EEvPKT_PKfPKiPfiiiiiiiiiiiiiiii
                                        ; -- End function
	.set _ZL9mul_mat_fI7__half2Li32ELi3ELi6ELb1EEvPKT_PKfPKiPfiiiiiiiiiiiiiiii.num_vgpr, max(3, .L_ZL14no_device_codePKciS0_iS0_.num_vgpr)
	.set _ZL9mul_mat_fI7__half2Li32ELi3ELi6ELb1EEvPKT_PKfPKiPfiiiiiiiiiiiiiiii.num_agpr, max(0, .L_ZL14no_device_codePKciS0_iS0_.num_agpr)
	.set _ZL9mul_mat_fI7__half2Li32ELi3ELi6ELb1EEvPKT_PKfPKiPfiiiiiiiiiiiiiiii.numbered_sgpr, max(33, .L_ZL14no_device_codePKciS0_iS0_.numbered_sgpr)
	.set _ZL9mul_mat_fI7__half2Li32ELi3ELi6ELb1EEvPKT_PKfPKiPfiiiiiiiiiiiiiiii.num_named_barrier, max(0, .L_ZL14no_device_codePKciS0_iS0_.num_named_barrier)
	.set _ZL9mul_mat_fI7__half2Li32ELi3ELi6ELb1EEvPKT_PKfPKiPfiiiiiiiiiiiiiiii.private_seg_size, 0+max(.L_ZL14no_device_codePKciS0_iS0_.private_seg_size)
	.set _ZL9mul_mat_fI7__half2Li32ELi3ELi6ELb1EEvPKT_PKfPKiPfiiiiiiiiiiiiiiii.uses_vcc, or(1, .L_ZL14no_device_codePKciS0_iS0_.uses_vcc)
	.set _ZL9mul_mat_fI7__half2Li32ELi3ELi6ELb1EEvPKT_PKfPKiPfiiiiiiiiiiiiiiii.uses_flat_scratch, or(0, .L_ZL14no_device_codePKciS0_iS0_.uses_flat_scratch)
	.set _ZL9mul_mat_fI7__half2Li32ELi3ELi6ELb1EEvPKT_PKfPKiPfiiiiiiiiiiiiiiii.has_dyn_sized_stack, or(0, .L_ZL14no_device_codePKciS0_iS0_.has_dyn_sized_stack)
	.set _ZL9mul_mat_fI7__half2Li32ELi3ELi6ELb1EEvPKT_PKfPKiPfiiiiiiiiiiiiiiii.has_recursion, or(0, .L_ZL14no_device_codePKciS0_iS0_.has_recursion)
	.set _ZL9mul_mat_fI7__half2Li32ELi3ELi6ELb1EEvPKT_PKfPKiPfiiiiiiiiiiiiiiii.has_indirect_call, or(0, .L_ZL14no_device_codePKciS0_iS0_.has_indirect_call)
	.section	.AMDGPU.csdata,"",@progbits
; Kernel info:
; codeLenInByte = 84
; TotalNumSgprs: 38
; NumVgprs: 38
; ScratchSize: 16
; MemoryBound: 0
; FloatMode: 240
; IeeeMode: 1
; LDSByteSize: 0 bytes/workgroup (compile time only)
; SGPRBlocks: 4
; VGPRBlocks: 9
; NumSGPRsForWavesPerEU: 38
; NumVGPRsForWavesPerEU: 38
; Occupancy: 6
; WaveLimiterHint : 1
; COMPUTE_PGM_RSRC2:SCRATCH_EN: 1
; COMPUTE_PGM_RSRC2:USER_SGPR: 6
; COMPUTE_PGM_RSRC2:TRAP_HANDLER: 0
; COMPUTE_PGM_RSRC2:TGID_X_EN: 1
; COMPUTE_PGM_RSRC2:TGID_Y_EN: 0
; COMPUTE_PGM_RSRC2:TGID_Z_EN: 0
; COMPUTE_PGM_RSRC2:TIDIG_COMP_CNT: 0
	.section	.text._ZL9mul_mat_fI7__half2Li32ELi3ELi6ELb0EEvPKT_PKfPKiPfiiiiiiiiiiiiiiii,"axG",@progbits,_ZL9mul_mat_fI7__half2Li32ELi3ELi6ELb0EEvPKT_PKfPKiPfiiiiiiiiiiiiiiii,comdat
	.globl	_ZL9mul_mat_fI7__half2Li32ELi3ELi6ELb0EEvPKT_PKfPKiPfiiiiiiiiiiiiiiii ; -- Begin function _ZL9mul_mat_fI7__half2Li32ELi3ELi6ELb0EEvPKT_PKfPKiPfiiiiiiiiiiiiiiii
	.p2align	8
	.type	_ZL9mul_mat_fI7__half2Li32ELi3ELi6ELb0EEvPKT_PKfPKiPfiiiiiiiiiiiiiiii,@function
_ZL9mul_mat_fI7__half2Li32ELi3ELi6ELb0EEvPKT_PKfPKiPfiiiiiiiiiiiiiiii: ; @_ZL9mul_mat_fI7__half2Li32ELi3ELi6ELb0EEvPKT_PKfPKiPfiiiiiiiiiiiiiiii
; %bb.0:
	s_add_u32 s0, s0, s7
	s_addc_u32 s1, s1, 0
	s_add_u32 s8, s4, 0x60
	s_addc_u32 s9, s5, 0
	s_getpc_b64 s[4:5]
	s_add_u32 s4, s4, __FUNCTION__._ZL9mul_mat_fIfLi32ELi3ELi1ELb1EEvPKT_PKfPKiPfiiiiiiiiiiiiiiii@rel32@lo+4
	s_addc_u32 s5, s5, __FUNCTION__._ZL9mul_mat_fIfLi32ELi3ELi1ELb1EEvPKT_PKfPKiPfiiiiiiiiiiiiiiii@rel32@hi+12
	s_getpc_b64 s[6:7]
	s_add_u32 s6, s6, _ZL14no_device_codePKciS0_iS0_@rel32@lo+4
	s_addc_u32 s7, s7, _ZL14no_device_codePKciS0_iS0_@rel32@hi+12
	v_mov_b32_e32 v0, 0x124
	v_mov_b32_e32 v1, s4
	;; [unrolled: 1-line block ×3, first 2 shown]
	s_mov_b32 s32, 0
	s_swappc_b64 s[30:31], s[6:7]
	.section	.rodata,"a",@progbits
	.p2align	6, 0x0
	.amdhsa_kernel _ZL9mul_mat_fI7__half2Li32ELi3ELi6ELb0EEvPKT_PKfPKiPfiiiiiiiiiiiiiiii
		.amdhsa_group_segment_fixed_size 0
		.amdhsa_private_segment_fixed_size 16
		.amdhsa_kernarg_size 352
		.amdhsa_user_sgpr_count 6
		.amdhsa_user_sgpr_private_segment_buffer 1
		.amdhsa_user_sgpr_dispatch_ptr 0
		.amdhsa_user_sgpr_queue_ptr 0
		.amdhsa_user_sgpr_kernarg_segment_ptr 1
		.amdhsa_user_sgpr_dispatch_id 0
		.amdhsa_user_sgpr_flat_scratch_init 0
		.amdhsa_user_sgpr_private_segment_size 0
		.amdhsa_uses_dynamic_stack 0
		.amdhsa_system_sgpr_private_segment_wavefront_offset 1
		.amdhsa_system_sgpr_workgroup_id_x 1
		.amdhsa_system_sgpr_workgroup_id_y 0
		.amdhsa_system_sgpr_workgroup_id_z 0
		.amdhsa_system_sgpr_workgroup_info 0
		.amdhsa_system_vgpr_workitem_id 0
		.amdhsa_next_free_vgpr 38
		.amdhsa_next_free_sgpr 34
		.amdhsa_reserve_vcc 1
		.amdhsa_reserve_flat_scratch 0
		.amdhsa_float_round_mode_32 0
		.amdhsa_float_round_mode_16_64 0
		.amdhsa_float_denorm_mode_32 3
		.amdhsa_float_denorm_mode_16_64 3
		.amdhsa_dx10_clamp 1
		.amdhsa_ieee_mode 1
		.amdhsa_fp16_overflow 0
		.amdhsa_exception_fp_ieee_invalid_op 0
		.amdhsa_exception_fp_denorm_src 0
		.amdhsa_exception_fp_ieee_div_zero 0
		.amdhsa_exception_fp_ieee_overflow 0
		.amdhsa_exception_fp_ieee_underflow 0
		.amdhsa_exception_fp_ieee_inexact 0
		.amdhsa_exception_int_div_zero 0
	.end_amdhsa_kernel
	.section	.text._ZL9mul_mat_fI7__half2Li32ELi3ELi6ELb0EEvPKT_PKfPKiPfiiiiiiiiiiiiiiii,"axG",@progbits,_ZL9mul_mat_fI7__half2Li32ELi3ELi6ELb0EEvPKT_PKfPKiPfiiiiiiiiiiiiiiii,comdat
.Lfunc_end44:
	.size	_ZL9mul_mat_fI7__half2Li32ELi3ELi6ELb0EEvPKT_PKfPKiPfiiiiiiiiiiiiiiii, .Lfunc_end44-_ZL9mul_mat_fI7__half2Li32ELi3ELi6ELb0EEvPKT_PKfPKiPfiiiiiiiiiiiiiiii
                                        ; -- End function
	.set _ZL9mul_mat_fI7__half2Li32ELi3ELi6ELb0EEvPKT_PKfPKiPfiiiiiiiiiiiiiiii.num_vgpr, max(3, .L_ZL14no_device_codePKciS0_iS0_.num_vgpr)
	.set _ZL9mul_mat_fI7__half2Li32ELi3ELi6ELb0EEvPKT_PKfPKiPfiiiiiiiiiiiiiiii.num_agpr, max(0, .L_ZL14no_device_codePKciS0_iS0_.num_agpr)
	.set _ZL9mul_mat_fI7__half2Li32ELi3ELi6ELb0EEvPKT_PKfPKiPfiiiiiiiiiiiiiiii.numbered_sgpr, max(33, .L_ZL14no_device_codePKciS0_iS0_.numbered_sgpr)
	.set _ZL9mul_mat_fI7__half2Li32ELi3ELi6ELb0EEvPKT_PKfPKiPfiiiiiiiiiiiiiiii.num_named_barrier, max(0, .L_ZL14no_device_codePKciS0_iS0_.num_named_barrier)
	.set _ZL9mul_mat_fI7__half2Li32ELi3ELi6ELb0EEvPKT_PKfPKiPfiiiiiiiiiiiiiiii.private_seg_size, 0+max(.L_ZL14no_device_codePKciS0_iS0_.private_seg_size)
	.set _ZL9mul_mat_fI7__half2Li32ELi3ELi6ELb0EEvPKT_PKfPKiPfiiiiiiiiiiiiiiii.uses_vcc, or(1, .L_ZL14no_device_codePKciS0_iS0_.uses_vcc)
	.set _ZL9mul_mat_fI7__half2Li32ELi3ELi6ELb0EEvPKT_PKfPKiPfiiiiiiiiiiiiiiii.uses_flat_scratch, or(0, .L_ZL14no_device_codePKciS0_iS0_.uses_flat_scratch)
	.set _ZL9mul_mat_fI7__half2Li32ELi3ELi6ELb0EEvPKT_PKfPKiPfiiiiiiiiiiiiiiii.has_dyn_sized_stack, or(0, .L_ZL14no_device_codePKciS0_iS0_.has_dyn_sized_stack)
	.set _ZL9mul_mat_fI7__half2Li32ELi3ELi6ELb0EEvPKT_PKfPKiPfiiiiiiiiiiiiiiii.has_recursion, or(0, .L_ZL14no_device_codePKciS0_iS0_.has_recursion)
	.set _ZL9mul_mat_fI7__half2Li32ELi3ELi6ELb0EEvPKT_PKfPKiPfiiiiiiiiiiiiiiii.has_indirect_call, or(0, .L_ZL14no_device_codePKciS0_iS0_.has_indirect_call)
	.section	.AMDGPU.csdata,"",@progbits
; Kernel info:
; codeLenInByte = 84
; TotalNumSgprs: 38
; NumVgprs: 38
; ScratchSize: 16
; MemoryBound: 0
; FloatMode: 240
; IeeeMode: 1
; LDSByteSize: 0 bytes/workgroup (compile time only)
; SGPRBlocks: 4
; VGPRBlocks: 9
; NumSGPRsForWavesPerEU: 38
; NumVGPRsForWavesPerEU: 38
; Occupancy: 6
; WaveLimiterHint : 1
; COMPUTE_PGM_RSRC2:SCRATCH_EN: 1
; COMPUTE_PGM_RSRC2:USER_SGPR: 6
; COMPUTE_PGM_RSRC2:TRAP_HANDLER: 0
; COMPUTE_PGM_RSRC2:TGID_X_EN: 1
; COMPUTE_PGM_RSRC2:TGID_Y_EN: 0
; COMPUTE_PGM_RSRC2:TGID_Z_EN: 0
; COMPUTE_PGM_RSRC2:TIDIG_COMP_CNT: 0
	.section	.text._ZL13mul_mat_f_idsI7__half2Li32ELi3ELi7EEvPKT_PKfPKiS7_S7_Pfiiiiiiiiiiiiii15HIP_vector_typeIjLj3EESA_,"axG",@progbits,_ZL13mul_mat_f_idsI7__half2Li32ELi3ELi7EEvPKT_PKfPKiS7_S7_Pfiiiiiiiiiiiiii15HIP_vector_typeIjLj3EESA_,comdat
	.globl	_ZL13mul_mat_f_idsI7__half2Li32ELi3ELi7EEvPKT_PKfPKiS7_S7_Pfiiiiiiiiiiiiii15HIP_vector_typeIjLj3EESA_ ; -- Begin function _ZL13mul_mat_f_idsI7__half2Li32ELi3ELi7EEvPKT_PKfPKiS7_S7_Pfiiiiiiiiiiiiii15HIP_vector_typeIjLj3EESA_
	.p2align	8
	.type	_ZL13mul_mat_f_idsI7__half2Li32ELi3ELi7EEvPKT_PKfPKiS7_S7_Pfiiiiiiiiiiiiii15HIP_vector_typeIjLj3EESA_,@function
_ZL13mul_mat_f_idsI7__half2Li32ELi3ELi7EEvPKT_PKfPKiS7_S7_Pfiiiiiiiiiiiiii15HIP_vector_typeIjLj3EESA_: ; @_ZL13mul_mat_f_idsI7__half2Li32ELi3ELi7EEvPKT_PKfPKiS7_S7_Pfiiiiiiiiiiiiii15HIP_vector_typeIjLj3EESA_
; %bb.0:
	s_add_u32 s0, s0, s7
	s_addc_u32 s1, s1, 0
	s_add_u32 s8, s4, 0x80
	s_addc_u32 s9, s5, 0
	s_getpc_b64 s[4:5]
	s_add_u32 s4, s4, __FUNCTION__._ZL13mul_mat_f_idsIfLi32ELi3ELi1EEvPKT_PKfPKiS6_S6_Pfiiiiiiiiiiiiii15HIP_vector_typeIjLj3EES9_@rel32@lo+4
	s_addc_u32 s5, s5, __FUNCTION__._ZL13mul_mat_f_idsIfLi32ELi3ELi1EEvPKT_PKfPKiS6_S6_Pfiiiiiiiiiiiiii15HIP_vector_typeIjLj3EES9_@rel32@hi+12
	s_getpc_b64 s[6:7]
	s_add_u32 s6, s6, _ZL14no_device_codePKciS0_iS0_@rel32@lo+4
	s_addc_u32 s7, s7, _ZL14no_device_codePKciS0_iS0_@rel32@hi+12
	v_mov_b32_e32 v0, 0x238
	v_mov_b32_e32 v1, s4
	;; [unrolled: 1-line block ×3, first 2 shown]
	s_mov_b32 s32, 0
	s_swappc_b64 s[30:31], s[6:7]
	.section	.rodata,"a",@progbits
	.p2align	6, 0x0
	.amdhsa_kernel _ZL13mul_mat_f_idsI7__half2Li32ELi3ELi7EEvPKT_PKfPKiS7_S7_Pfiiiiiiiiiiiiii15HIP_vector_typeIjLj3EESA_
		.amdhsa_group_segment_fixed_size 0
		.amdhsa_private_segment_fixed_size 16
		.amdhsa_kernarg_size 384
		.amdhsa_user_sgpr_count 6
		.amdhsa_user_sgpr_private_segment_buffer 1
		.amdhsa_user_sgpr_dispatch_ptr 0
		.amdhsa_user_sgpr_queue_ptr 0
		.amdhsa_user_sgpr_kernarg_segment_ptr 1
		.amdhsa_user_sgpr_dispatch_id 0
		.amdhsa_user_sgpr_flat_scratch_init 0
		.amdhsa_user_sgpr_private_segment_size 0
		.amdhsa_uses_dynamic_stack 0
		.amdhsa_system_sgpr_private_segment_wavefront_offset 1
		.amdhsa_system_sgpr_workgroup_id_x 1
		.amdhsa_system_sgpr_workgroup_id_y 0
		.amdhsa_system_sgpr_workgroup_id_z 0
		.amdhsa_system_sgpr_workgroup_info 0
		.amdhsa_system_vgpr_workitem_id 0
		.amdhsa_next_free_vgpr 38
		.amdhsa_next_free_sgpr 34
		.amdhsa_reserve_vcc 1
		.amdhsa_reserve_flat_scratch 0
		.amdhsa_float_round_mode_32 0
		.amdhsa_float_round_mode_16_64 0
		.amdhsa_float_denorm_mode_32 3
		.amdhsa_float_denorm_mode_16_64 3
		.amdhsa_dx10_clamp 1
		.amdhsa_ieee_mode 1
		.amdhsa_fp16_overflow 0
		.amdhsa_exception_fp_ieee_invalid_op 0
		.amdhsa_exception_fp_denorm_src 0
		.amdhsa_exception_fp_ieee_div_zero 0
		.amdhsa_exception_fp_ieee_overflow 0
		.amdhsa_exception_fp_ieee_underflow 0
		.amdhsa_exception_fp_ieee_inexact 0
		.amdhsa_exception_int_div_zero 0
	.end_amdhsa_kernel
	.section	.text._ZL13mul_mat_f_idsI7__half2Li32ELi3ELi7EEvPKT_PKfPKiS7_S7_Pfiiiiiiiiiiiiii15HIP_vector_typeIjLj3EESA_,"axG",@progbits,_ZL13mul_mat_f_idsI7__half2Li32ELi3ELi7EEvPKT_PKfPKiS7_S7_Pfiiiiiiiiiiiiii15HIP_vector_typeIjLj3EESA_,comdat
.Lfunc_end45:
	.size	_ZL13mul_mat_f_idsI7__half2Li32ELi3ELi7EEvPKT_PKfPKiS7_S7_Pfiiiiiiiiiiiiii15HIP_vector_typeIjLj3EESA_, .Lfunc_end45-_ZL13mul_mat_f_idsI7__half2Li32ELi3ELi7EEvPKT_PKfPKiS7_S7_Pfiiiiiiiiiiiiii15HIP_vector_typeIjLj3EESA_
                                        ; -- End function
	.set _ZL13mul_mat_f_idsI7__half2Li32ELi3ELi7EEvPKT_PKfPKiS7_S7_Pfiiiiiiiiiiiiii15HIP_vector_typeIjLj3EESA_.num_vgpr, max(3, .L_ZL14no_device_codePKciS0_iS0_.num_vgpr)
	.set _ZL13mul_mat_f_idsI7__half2Li32ELi3ELi7EEvPKT_PKfPKiS7_S7_Pfiiiiiiiiiiiiii15HIP_vector_typeIjLj3EESA_.num_agpr, max(0, .L_ZL14no_device_codePKciS0_iS0_.num_agpr)
	.set _ZL13mul_mat_f_idsI7__half2Li32ELi3ELi7EEvPKT_PKfPKiS7_S7_Pfiiiiiiiiiiiiii15HIP_vector_typeIjLj3EESA_.numbered_sgpr, max(33, .L_ZL14no_device_codePKciS0_iS0_.numbered_sgpr)
	.set _ZL13mul_mat_f_idsI7__half2Li32ELi3ELi7EEvPKT_PKfPKiS7_S7_Pfiiiiiiiiiiiiii15HIP_vector_typeIjLj3EESA_.num_named_barrier, max(0, .L_ZL14no_device_codePKciS0_iS0_.num_named_barrier)
	.set _ZL13mul_mat_f_idsI7__half2Li32ELi3ELi7EEvPKT_PKfPKiS7_S7_Pfiiiiiiiiiiiiii15HIP_vector_typeIjLj3EESA_.private_seg_size, 0+max(.L_ZL14no_device_codePKciS0_iS0_.private_seg_size)
	.set _ZL13mul_mat_f_idsI7__half2Li32ELi3ELi7EEvPKT_PKfPKiS7_S7_Pfiiiiiiiiiiiiii15HIP_vector_typeIjLj3EESA_.uses_vcc, or(1, .L_ZL14no_device_codePKciS0_iS0_.uses_vcc)
	.set _ZL13mul_mat_f_idsI7__half2Li32ELi3ELi7EEvPKT_PKfPKiS7_S7_Pfiiiiiiiiiiiiii15HIP_vector_typeIjLj3EESA_.uses_flat_scratch, or(0, .L_ZL14no_device_codePKciS0_iS0_.uses_flat_scratch)
	.set _ZL13mul_mat_f_idsI7__half2Li32ELi3ELi7EEvPKT_PKfPKiS7_S7_Pfiiiiiiiiiiiiii15HIP_vector_typeIjLj3EESA_.has_dyn_sized_stack, or(0, .L_ZL14no_device_codePKciS0_iS0_.has_dyn_sized_stack)
	.set _ZL13mul_mat_f_idsI7__half2Li32ELi3ELi7EEvPKT_PKfPKiS7_S7_Pfiiiiiiiiiiiiii15HIP_vector_typeIjLj3EESA_.has_recursion, or(0, .L_ZL14no_device_codePKciS0_iS0_.has_recursion)
	.set _ZL13mul_mat_f_idsI7__half2Li32ELi3ELi7EEvPKT_PKfPKiS7_S7_Pfiiiiiiiiiiiiii15HIP_vector_typeIjLj3EESA_.has_indirect_call, or(0, .L_ZL14no_device_codePKciS0_iS0_.has_indirect_call)
	.section	.AMDGPU.csdata,"",@progbits
; Kernel info:
; codeLenInByte = 84
; TotalNumSgprs: 38
; NumVgprs: 38
; ScratchSize: 16
; MemoryBound: 0
; FloatMode: 240
; IeeeMode: 1
; LDSByteSize: 0 bytes/workgroup (compile time only)
; SGPRBlocks: 4
; VGPRBlocks: 9
; NumSGPRsForWavesPerEU: 38
; NumVGPRsForWavesPerEU: 38
; Occupancy: 6
; WaveLimiterHint : 1
; COMPUTE_PGM_RSRC2:SCRATCH_EN: 1
; COMPUTE_PGM_RSRC2:USER_SGPR: 6
; COMPUTE_PGM_RSRC2:TRAP_HANDLER: 0
; COMPUTE_PGM_RSRC2:TGID_X_EN: 1
; COMPUTE_PGM_RSRC2:TGID_Y_EN: 0
; COMPUTE_PGM_RSRC2:TGID_Z_EN: 0
; COMPUTE_PGM_RSRC2:TIDIG_COMP_CNT: 0
	.section	.text._ZL9mul_mat_fI7__half2Li32ELi3ELi7ELb1EEvPKT_PKfPKiPfiiiiiiiiiiiiiiii,"axG",@progbits,_ZL9mul_mat_fI7__half2Li32ELi3ELi7ELb1EEvPKT_PKfPKiPfiiiiiiiiiiiiiiii,comdat
	.globl	_ZL9mul_mat_fI7__half2Li32ELi3ELi7ELb1EEvPKT_PKfPKiPfiiiiiiiiiiiiiiii ; -- Begin function _ZL9mul_mat_fI7__half2Li32ELi3ELi7ELb1EEvPKT_PKfPKiPfiiiiiiiiiiiiiiii
	.p2align	8
	.type	_ZL9mul_mat_fI7__half2Li32ELi3ELi7ELb1EEvPKT_PKfPKiPfiiiiiiiiiiiiiiii,@function
_ZL9mul_mat_fI7__half2Li32ELi3ELi7ELb1EEvPKT_PKfPKiPfiiiiiiiiiiiiiiii: ; @_ZL9mul_mat_fI7__half2Li32ELi3ELi7ELb1EEvPKT_PKfPKiPfiiiiiiiiiiiiiiii
; %bb.0:
	s_add_u32 s0, s0, s7
	s_addc_u32 s1, s1, 0
	s_add_u32 s8, s4, 0x60
	s_addc_u32 s9, s5, 0
	s_getpc_b64 s[4:5]
	s_add_u32 s4, s4, __FUNCTION__._ZL9mul_mat_fIfLi32ELi3ELi1ELb1EEvPKT_PKfPKiPfiiiiiiiiiiiiiiii@rel32@lo+4
	s_addc_u32 s5, s5, __FUNCTION__._ZL9mul_mat_fIfLi32ELi3ELi1ELb1EEvPKT_PKfPKiPfiiiiiiiiiiiiiiii@rel32@hi+12
	s_getpc_b64 s[6:7]
	s_add_u32 s6, s6, _ZL14no_device_codePKciS0_iS0_@rel32@lo+4
	s_addc_u32 s7, s7, _ZL14no_device_codePKciS0_iS0_@rel32@hi+12
	v_mov_b32_e32 v0, 0x124
	v_mov_b32_e32 v1, s4
	;; [unrolled: 1-line block ×3, first 2 shown]
	s_mov_b32 s32, 0
	s_swappc_b64 s[30:31], s[6:7]
	.section	.rodata,"a",@progbits
	.p2align	6, 0x0
	.amdhsa_kernel _ZL9mul_mat_fI7__half2Li32ELi3ELi7ELb1EEvPKT_PKfPKiPfiiiiiiiiiiiiiiii
		.amdhsa_group_segment_fixed_size 0
		.amdhsa_private_segment_fixed_size 16
		.amdhsa_kernarg_size 352
		.amdhsa_user_sgpr_count 6
		.amdhsa_user_sgpr_private_segment_buffer 1
		.amdhsa_user_sgpr_dispatch_ptr 0
		.amdhsa_user_sgpr_queue_ptr 0
		.amdhsa_user_sgpr_kernarg_segment_ptr 1
		.amdhsa_user_sgpr_dispatch_id 0
		.amdhsa_user_sgpr_flat_scratch_init 0
		.amdhsa_user_sgpr_private_segment_size 0
		.amdhsa_uses_dynamic_stack 0
		.amdhsa_system_sgpr_private_segment_wavefront_offset 1
		.amdhsa_system_sgpr_workgroup_id_x 1
		.amdhsa_system_sgpr_workgroup_id_y 0
		.amdhsa_system_sgpr_workgroup_id_z 0
		.amdhsa_system_sgpr_workgroup_info 0
		.amdhsa_system_vgpr_workitem_id 0
		.amdhsa_next_free_vgpr 38
		.amdhsa_next_free_sgpr 34
		.amdhsa_reserve_vcc 1
		.amdhsa_reserve_flat_scratch 0
		.amdhsa_float_round_mode_32 0
		.amdhsa_float_round_mode_16_64 0
		.amdhsa_float_denorm_mode_32 3
		.amdhsa_float_denorm_mode_16_64 3
		.amdhsa_dx10_clamp 1
		.amdhsa_ieee_mode 1
		.amdhsa_fp16_overflow 0
		.amdhsa_exception_fp_ieee_invalid_op 0
		.amdhsa_exception_fp_denorm_src 0
		.amdhsa_exception_fp_ieee_div_zero 0
		.amdhsa_exception_fp_ieee_overflow 0
		.amdhsa_exception_fp_ieee_underflow 0
		.amdhsa_exception_fp_ieee_inexact 0
		.amdhsa_exception_int_div_zero 0
	.end_amdhsa_kernel
	.section	.text._ZL9mul_mat_fI7__half2Li32ELi3ELi7ELb1EEvPKT_PKfPKiPfiiiiiiiiiiiiiiii,"axG",@progbits,_ZL9mul_mat_fI7__half2Li32ELi3ELi7ELb1EEvPKT_PKfPKiPfiiiiiiiiiiiiiiii,comdat
.Lfunc_end46:
	.size	_ZL9mul_mat_fI7__half2Li32ELi3ELi7ELb1EEvPKT_PKfPKiPfiiiiiiiiiiiiiiii, .Lfunc_end46-_ZL9mul_mat_fI7__half2Li32ELi3ELi7ELb1EEvPKT_PKfPKiPfiiiiiiiiiiiiiiii
                                        ; -- End function
	.set _ZL9mul_mat_fI7__half2Li32ELi3ELi7ELb1EEvPKT_PKfPKiPfiiiiiiiiiiiiiiii.num_vgpr, max(3, .L_ZL14no_device_codePKciS0_iS0_.num_vgpr)
	.set _ZL9mul_mat_fI7__half2Li32ELi3ELi7ELb1EEvPKT_PKfPKiPfiiiiiiiiiiiiiiii.num_agpr, max(0, .L_ZL14no_device_codePKciS0_iS0_.num_agpr)
	.set _ZL9mul_mat_fI7__half2Li32ELi3ELi7ELb1EEvPKT_PKfPKiPfiiiiiiiiiiiiiiii.numbered_sgpr, max(33, .L_ZL14no_device_codePKciS0_iS0_.numbered_sgpr)
	.set _ZL9mul_mat_fI7__half2Li32ELi3ELi7ELb1EEvPKT_PKfPKiPfiiiiiiiiiiiiiiii.num_named_barrier, max(0, .L_ZL14no_device_codePKciS0_iS0_.num_named_barrier)
	.set _ZL9mul_mat_fI7__half2Li32ELi3ELi7ELb1EEvPKT_PKfPKiPfiiiiiiiiiiiiiiii.private_seg_size, 0+max(.L_ZL14no_device_codePKciS0_iS0_.private_seg_size)
	.set _ZL9mul_mat_fI7__half2Li32ELi3ELi7ELb1EEvPKT_PKfPKiPfiiiiiiiiiiiiiiii.uses_vcc, or(1, .L_ZL14no_device_codePKciS0_iS0_.uses_vcc)
	.set _ZL9mul_mat_fI7__half2Li32ELi3ELi7ELb1EEvPKT_PKfPKiPfiiiiiiiiiiiiiiii.uses_flat_scratch, or(0, .L_ZL14no_device_codePKciS0_iS0_.uses_flat_scratch)
	.set _ZL9mul_mat_fI7__half2Li32ELi3ELi7ELb1EEvPKT_PKfPKiPfiiiiiiiiiiiiiiii.has_dyn_sized_stack, or(0, .L_ZL14no_device_codePKciS0_iS0_.has_dyn_sized_stack)
	.set _ZL9mul_mat_fI7__half2Li32ELi3ELi7ELb1EEvPKT_PKfPKiPfiiiiiiiiiiiiiiii.has_recursion, or(0, .L_ZL14no_device_codePKciS0_iS0_.has_recursion)
	.set _ZL9mul_mat_fI7__half2Li32ELi3ELi7ELb1EEvPKT_PKfPKiPfiiiiiiiiiiiiiiii.has_indirect_call, or(0, .L_ZL14no_device_codePKciS0_iS0_.has_indirect_call)
	.section	.AMDGPU.csdata,"",@progbits
; Kernel info:
; codeLenInByte = 84
; TotalNumSgprs: 38
; NumVgprs: 38
; ScratchSize: 16
; MemoryBound: 0
; FloatMode: 240
; IeeeMode: 1
; LDSByteSize: 0 bytes/workgroup (compile time only)
; SGPRBlocks: 4
; VGPRBlocks: 9
; NumSGPRsForWavesPerEU: 38
; NumVGPRsForWavesPerEU: 38
; Occupancy: 6
; WaveLimiterHint : 1
; COMPUTE_PGM_RSRC2:SCRATCH_EN: 1
; COMPUTE_PGM_RSRC2:USER_SGPR: 6
; COMPUTE_PGM_RSRC2:TRAP_HANDLER: 0
; COMPUTE_PGM_RSRC2:TGID_X_EN: 1
; COMPUTE_PGM_RSRC2:TGID_Y_EN: 0
; COMPUTE_PGM_RSRC2:TGID_Z_EN: 0
; COMPUTE_PGM_RSRC2:TIDIG_COMP_CNT: 0
	.section	.text._ZL9mul_mat_fI7__half2Li32ELi3ELi7ELb0EEvPKT_PKfPKiPfiiiiiiiiiiiiiiii,"axG",@progbits,_ZL9mul_mat_fI7__half2Li32ELi3ELi7ELb0EEvPKT_PKfPKiPfiiiiiiiiiiiiiiii,comdat
	.globl	_ZL9mul_mat_fI7__half2Li32ELi3ELi7ELb0EEvPKT_PKfPKiPfiiiiiiiiiiiiiiii ; -- Begin function _ZL9mul_mat_fI7__half2Li32ELi3ELi7ELb0EEvPKT_PKfPKiPfiiiiiiiiiiiiiiii
	.p2align	8
	.type	_ZL9mul_mat_fI7__half2Li32ELi3ELi7ELb0EEvPKT_PKfPKiPfiiiiiiiiiiiiiiii,@function
_ZL9mul_mat_fI7__half2Li32ELi3ELi7ELb0EEvPKT_PKfPKiPfiiiiiiiiiiiiiiii: ; @_ZL9mul_mat_fI7__half2Li32ELi3ELi7ELb0EEvPKT_PKfPKiPfiiiiiiiiiiiiiiii
; %bb.0:
	s_add_u32 s0, s0, s7
	s_addc_u32 s1, s1, 0
	s_add_u32 s8, s4, 0x60
	s_addc_u32 s9, s5, 0
	s_getpc_b64 s[4:5]
	s_add_u32 s4, s4, __FUNCTION__._ZL9mul_mat_fIfLi32ELi3ELi1ELb1EEvPKT_PKfPKiPfiiiiiiiiiiiiiiii@rel32@lo+4
	s_addc_u32 s5, s5, __FUNCTION__._ZL9mul_mat_fIfLi32ELi3ELi1ELb1EEvPKT_PKfPKiPfiiiiiiiiiiiiiiii@rel32@hi+12
	s_getpc_b64 s[6:7]
	s_add_u32 s6, s6, _ZL14no_device_codePKciS0_iS0_@rel32@lo+4
	s_addc_u32 s7, s7, _ZL14no_device_codePKciS0_iS0_@rel32@hi+12
	v_mov_b32_e32 v0, 0x124
	v_mov_b32_e32 v1, s4
	;; [unrolled: 1-line block ×3, first 2 shown]
	s_mov_b32 s32, 0
	s_swappc_b64 s[30:31], s[6:7]
	.section	.rodata,"a",@progbits
	.p2align	6, 0x0
	.amdhsa_kernel _ZL9mul_mat_fI7__half2Li32ELi3ELi7ELb0EEvPKT_PKfPKiPfiiiiiiiiiiiiiiii
		.amdhsa_group_segment_fixed_size 0
		.amdhsa_private_segment_fixed_size 16
		.amdhsa_kernarg_size 352
		.amdhsa_user_sgpr_count 6
		.amdhsa_user_sgpr_private_segment_buffer 1
		.amdhsa_user_sgpr_dispatch_ptr 0
		.amdhsa_user_sgpr_queue_ptr 0
		.amdhsa_user_sgpr_kernarg_segment_ptr 1
		.amdhsa_user_sgpr_dispatch_id 0
		.amdhsa_user_sgpr_flat_scratch_init 0
		.amdhsa_user_sgpr_private_segment_size 0
		.amdhsa_uses_dynamic_stack 0
		.amdhsa_system_sgpr_private_segment_wavefront_offset 1
		.amdhsa_system_sgpr_workgroup_id_x 1
		.amdhsa_system_sgpr_workgroup_id_y 0
		.amdhsa_system_sgpr_workgroup_id_z 0
		.amdhsa_system_sgpr_workgroup_info 0
		.amdhsa_system_vgpr_workitem_id 0
		.amdhsa_next_free_vgpr 38
		.amdhsa_next_free_sgpr 34
		.amdhsa_reserve_vcc 1
		.amdhsa_reserve_flat_scratch 0
		.amdhsa_float_round_mode_32 0
		.amdhsa_float_round_mode_16_64 0
		.amdhsa_float_denorm_mode_32 3
		.amdhsa_float_denorm_mode_16_64 3
		.amdhsa_dx10_clamp 1
		.amdhsa_ieee_mode 1
		.amdhsa_fp16_overflow 0
		.amdhsa_exception_fp_ieee_invalid_op 0
		.amdhsa_exception_fp_denorm_src 0
		.amdhsa_exception_fp_ieee_div_zero 0
		.amdhsa_exception_fp_ieee_overflow 0
		.amdhsa_exception_fp_ieee_underflow 0
		.amdhsa_exception_fp_ieee_inexact 0
		.amdhsa_exception_int_div_zero 0
	.end_amdhsa_kernel
	.section	.text._ZL9mul_mat_fI7__half2Li32ELi3ELi7ELb0EEvPKT_PKfPKiPfiiiiiiiiiiiiiiii,"axG",@progbits,_ZL9mul_mat_fI7__half2Li32ELi3ELi7ELb0EEvPKT_PKfPKiPfiiiiiiiiiiiiiiii,comdat
.Lfunc_end47:
	.size	_ZL9mul_mat_fI7__half2Li32ELi3ELi7ELb0EEvPKT_PKfPKiPfiiiiiiiiiiiiiiii, .Lfunc_end47-_ZL9mul_mat_fI7__half2Li32ELi3ELi7ELb0EEvPKT_PKfPKiPfiiiiiiiiiiiiiiii
                                        ; -- End function
	.set _ZL9mul_mat_fI7__half2Li32ELi3ELi7ELb0EEvPKT_PKfPKiPfiiiiiiiiiiiiiiii.num_vgpr, max(3, .L_ZL14no_device_codePKciS0_iS0_.num_vgpr)
	.set _ZL9mul_mat_fI7__half2Li32ELi3ELi7ELb0EEvPKT_PKfPKiPfiiiiiiiiiiiiiiii.num_agpr, max(0, .L_ZL14no_device_codePKciS0_iS0_.num_agpr)
	.set _ZL9mul_mat_fI7__half2Li32ELi3ELi7ELb0EEvPKT_PKfPKiPfiiiiiiiiiiiiiiii.numbered_sgpr, max(33, .L_ZL14no_device_codePKciS0_iS0_.numbered_sgpr)
	.set _ZL9mul_mat_fI7__half2Li32ELi3ELi7ELb0EEvPKT_PKfPKiPfiiiiiiiiiiiiiiii.num_named_barrier, max(0, .L_ZL14no_device_codePKciS0_iS0_.num_named_barrier)
	.set _ZL9mul_mat_fI7__half2Li32ELi3ELi7ELb0EEvPKT_PKfPKiPfiiiiiiiiiiiiiiii.private_seg_size, 0+max(.L_ZL14no_device_codePKciS0_iS0_.private_seg_size)
	.set _ZL9mul_mat_fI7__half2Li32ELi3ELi7ELb0EEvPKT_PKfPKiPfiiiiiiiiiiiiiiii.uses_vcc, or(1, .L_ZL14no_device_codePKciS0_iS0_.uses_vcc)
	.set _ZL9mul_mat_fI7__half2Li32ELi3ELi7ELb0EEvPKT_PKfPKiPfiiiiiiiiiiiiiiii.uses_flat_scratch, or(0, .L_ZL14no_device_codePKciS0_iS0_.uses_flat_scratch)
	.set _ZL9mul_mat_fI7__half2Li32ELi3ELi7ELb0EEvPKT_PKfPKiPfiiiiiiiiiiiiiiii.has_dyn_sized_stack, or(0, .L_ZL14no_device_codePKciS0_iS0_.has_dyn_sized_stack)
	.set _ZL9mul_mat_fI7__half2Li32ELi3ELi7ELb0EEvPKT_PKfPKiPfiiiiiiiiiiiiiiii.has_recursion, or(0, .L_ZL14no_device_codePKciS0_iS0_.has_recursion)
	.set _ZL9mul_mat_fI7__half2Li32ELi3ELi7ELb0EEvPKT_PKfPKiPfiiiiiiiiiiiiiiii.has_indirect_call, or(0, .L_ZL14no_device_codePKciS0_iS0_.has_indirect_call)
	.section	.AMDGPU.csdata,"",@progbits
; Kernel info:
; codeLenInByte = 84
; TotalNumSgprs: 38
; NumVgprs: 38
; ScratchSize: 16
; MemoryBound: 0
; FloatMode: 240
; IeeeMode: 1
; LDSByteSize: 0 bytes/workgroup (compile time only)
; SGPRBlocks: 4
; VGPRBlocks: 9
; NumSGPRsForWavesPerEU: 38
; NumVGPRsForWavesPerEU: 38
; Occupancy: 6
; WaveLimiterHint : 1
; COMPUTE_PGM_RSRC2:SCRATCH_EN: 1
; COMPUTE_PGM_RSRC2:USER_SGPR: 6
; COMPUTE_PGM_RSRC2:TRAP_HANDLER: 0
; COMPUTE_PGM_RSRC2:TGID_X_EN: 1
; COMPUTE_PGM_RSRC2:TGID_Y_EN: 0
; COMPUTE_PGM_RSRC2:TGID_Z_EN: 0
; COMPUTE_PGM_RSRC2:TIDIG_COMP_CNT: 0
	.section	.text._ZL13mul_mat_f_idsI7__half2Li32ELi3ELi8EEvPKT_PKfPKiS7_S7_Pfiiiiiiiiiiiiii15HIP_vector_typeIjLj3EESA_,"axG",@progbits,_ZL13mul_mat_f_idsI7__half2Li32ELi3ELi8EEvPKT_PKfPKiS7_S7_Pfiiiiiiiiiiiiii15HIP_vector_typeIjLj3EESA_,comdat
	.globl	_ZL13mul_mat_f_idsI7__half2Li32ELi3ELi8EEvPKT_PKfPKiS7_S7_Pfiiiiiiiiiiiiii15HIP_vector_typeIjLj3EESA_ ; -- Begin function _ZL13mul_mat_f_idsI7__half2Li32ELi3ELi8EEvPKT_PKfPKiS7_S7_Pfiiiiiiiiiiiiii15HIP_vector_typeIjLj3EESA_
	.p2align	8
	.type	_ZL13mul_mat_f_idsI7__half2Li32ELi3ELi8EEvPKT_PKfPKiS7_S7_Pfiiiiiiiiiiiiii15HIP_vector_typeIjLj3EESA_,@function
_ZL13mul_mat_f_idsI7__half2Li32ELi3ELi8EEvPKT_PKfPKiS7_S7_Pfiiiiiiiiiiiiii15HIP_vector_typeIjLj3EESA_: ; @_ZL13mul_mat_f_idsI7__half2Li32ELi3ELi8EEvPKT_PKfPKiS7_S7_Pfiiiiiiiiiiiiii15HIP_vector_typeIjLj3EESA_
; %bb.0:
	s_add_u32 s0, s0, s7
	s_addc_u32 s1, s1, 0
	s_add_u32 s8, s4, 0x80
	s_addc_u32 s9, s5, 0
	s_getpc_b64 s[4:5]
	s_add_u32 s4, s4, __FUNCTION__._ZL13mul_mat_f_idsIfLi32ELi3ELi1EEvPKT_PKfPKiS6_S6_Pfiiiiiiiiiiiiii15HIP_vector_typeIjLj3EES9_@rel32@lo+4
	s_addc_u32 s5, s5, __FUNCTION__._ZL13mul_mat_f_idsIfLi32ELi3ELi1EEvPKT_PKfPKiS6_S6_Pfiiiiiiiiiiiiii15HIP_vector_typeIjLj3EES9_@rel32@hi+12
	s_getpc_b64 s[6:7]
	s_add_u32 s6, s6, _ZL14no_device_codePKciS0_iS0_@rel32@lo+4
	s_addc_u32 s7, s7, _ZL14no_device_codePKciS0_iS0_@rel32@hi+12
	v_mov_b32_e32 v0, 0x238
	v_mov_b32_e32 v1, s4
	;; [unrolled: 1-line block ×3, first 2 shown]
	s_mov_b32 s32, 0
	s_swappc_b64 s[30:31], s[6:7]
	.section	.rodata,"a",@progbits
	.p2align	6, 0x0
	.amdhsa_kernel _ZL13mul_mat_f_idsI7__half2Li32ELi3ELi8EEvPKT_PKfPKiS7_S7_Pfiiiiiiiiiiiiii15HIP_vector_typeIjLj3EESA_
		.amdhsa_group_segment_fixed_size 0
		.amdhsa_private_segment_fixed_size 16
		.amdhsa_kernarg_size 384
		.amdhsa_user_sgpr_count 6
		.amdhsa_user_sgpr_private_segment_buffer 1
		.amdhsa_user_sgpr_dispatch_ptr 0
		.amdhsa_user_sgpr_queue_ptr 0
		.amdhsa_user_sgpr_kernarg_segment_ptr 1
		.amdhsa_user_sgpr_dispatch_id 0
		.amdhsa_user_sgpr_flat_scratch_init 0
		.amdhsa_user_sgpr_private_segment_size 0
		.amdhsa_uses_dynamic_stack 0
		.amdhsa_system_sgpr_private_segment_wavefront_offset 1
		.amdhsa_system_sgpr_workgroup_id_x 1
		.amdhsa_system_sgpr_workgroup_id_y 0
		.amdhsa_system_sgpr_workgroup_id_z 0
		.amdhsa_system_sgpr_workgroup_info 0
		.amdhsa_system_vgpr_workitem_id 0
		.amdhsa_next_free_vgpr 38
		.amdhsa_next_free_sgpr 34
		.amdhsa_reserve_vcc 1
		.amdhsa_reserve_flat_scratch 0
		.amdhsa_float_round_mode_32 0
		.amdhsa_float_round_mode_16_64 0
		.amdhsa_float_denorm_mode_32 3
		.amdhsa_float_denorm_mode_16_64 3
		.amdhsa_dx10_clamp 1
		.amdhsa_ieee_mode 1
		.amdhsa_fp16_overflow 0
		.amdhsa_exception_fp_ieee_invalid_op 0
		.amdhsa_exception_fp_denorm_src 0
		.amdhsa_exception_fp_ieee_div_zero 0
		.amdhsa_exception_fp_ieee_overflow 0
		.amdhsa_exception_fp_ieee_underflow 0
		.amdhsa_exception_fp_ieee_inexact 0
		.amdhsa_exception_int_div_zero 0
	.end_amdhsa_kernel
	.section	.text._ZL13mul_mat_f_idsI7__half2Li32ELi3ELi8EEvPKT_PKfPKiS7_S7_Pfiiiiiiiiiiiiii15HIP_vector_typeIjLj3EESA_,"axG",@progbits,_ZL13mul_mat_f_idsI7__half2Li32ELi3ELi8EEvPKT_PKfPKiS7_S7_Pfiiiiiiiiiiiiii15HIP_vector_typeIjLj3EESA_,comdat
.Lfunc_end48:
	.size	_ZL13mul_mat_f_idsI7__half2Li32ELi3ELi8EEvPKT_PKfPKiS7_S7_Pfiiiiiiiiiiiiii15HIP_vector_typeIjLj3EESA_, .Lfunc_end48-_ZL13mul_mat_f_idsI7__half2Li32ELi3ELi8EEvPKT_PKfPKiS7_S7_Pfiiiiiiiiiiiiii15HIP_vector_typeIjLj3EESA_
                                        ; -- End function
	.set _ZL13mul_mat_f_idsI7__half2Li32ELi3ELi8EEvPKT_PKfPKiS7_S7_Pfiiiiiiiiiiiiii15HIP_vector_typeIjLj3EESA_.num_vgpr, max(3, .L_ZL14no_device_codePKciS0_iS0_.num_vgpr)
	.set _ZL13mul_mat_f_idsI7__half2Li32ELi3ELi8EEvPKT_PKfPKiS7_S7_Pfiiiiiiiiiiiiii15HIP_vector_typeIjLj3EESA_.num_agpr, max(0, .L_ZL14no_device_codePKciS0_iS0_.num_agpr)
	.set _ZL13mul_mat_f_idsI7__half2Li32ELi3ELi8EEvPKT_PKfPKiS7_S7_Pfiiiiiiiiiiiiii15HIP_vector_typeIjLj3EESA_.numbered_sgpr, max(33, .L_ZL14no_device_codePKciS0_iS0_.numbered_sgpr)
	.set _ZL13mul_mat_f_idsI7__half2Li32ELi3ELi8EEvPKT_PKfPKiS7_S7_Pfiiiiiiiiiiiiii15HIP_vector_typeIjLj3EESA_.num_named_barrier, max(0, .L_ZL14no_device_codePKciS0_iS0_.num_named_barrier)
	.set _ZL13mul_mat_f_idsI7__half2Li32ELi3ELi8EEvPKT_PKfPKiS7_S7_Pfiiiiiiiiiiiiii15HIP_vector_typeIjLj3EESA_.private_seg_size, 0+max(.L_ZL14no_device_codePKciS0_iS0_.private_seg_size)
	.set _ZL13mul_mat_f_idsI7__half2Li32ELi3ELi8EEvPKT_PKfPKiS7_S7_Pfiiiiiiiiiiiiii15HIP_vector_typeIjLj3EESA_.uses_vcc, or(1, .L_ZL14no_device_codePKciS0_iS0_.uses_vcc)
	.set _ZL13mul_mat_f_idsI7__half2Li32ELi3ELi8EEvPKT_PKfPKiS7_S7_Pfiiiiiiiiiiiiii15HIP_vector_typeIjLj3EESA_.uses_flat_scratch, or(0, .L_ZL14no_device_codePKciS0_iS0_.uses_flat_scratch)
	.set _ZL13mul_mat_f_idsI7__half2Li32ELi3ELi8EEvPKT_PKfPKiS7_S7_Pfiiiiiiiiiiiiii15HIP_vector_typeIjLj3EESA_.has_dyn_sized_stack, or(0, .L_ZL14no_device_codePKciS0_iS0_.has_dyn_sized_stack)
	.set _ZL13mul_mat_f_idsI7__half2Li32ELi3ELi8EEvPKT_PKfPKiS7_S7_Pfiiiiiiiiiiiiii15HIP_vector_typeIjLj3EESA_.has_recursion, or(0, .L_ZL14no_device_codePKciS0_iS0_.has_recursion)
	.set _ZL13mul_mat_f_idsI7__half2Li32ELi3ELi8EEvPKT_PKfPKiS7_S7_Pfiiiiiiiiiiiiii15HIP_vector_typeIjLj3EESA_.has_indirect_call, or(0, .L_ZL14no_device_codePKciS0_iS0_.has_indirect_call)
	.section	.AMDGPU.csdata,"",@progbits
; Kernel info:
; codeLenInByte = 84
; TotalNumSgprs: 38
; NumVgprs: 38
; ScratchSize: 16
; MemoryBound: 0
; FloatMode: 240
; IeeeMode: 1
; LDSByteSize: 0 bytes/workgroup (compile time only)
; SGPRBlocks: 4
; VGPRBlocks: 9
; NumSGPRsForWavesPerEU: 38
; NumVGPRsForWavesPerEU: 38
; Occupancy: 6
; WaveLimiterHint : 1
; COMPUTE_PGM_RSRC2:SCRATCH_EN: 1
; COMPUTE_PGM_RSRC2:USER_SGPR: 6
; COMPUTE_PGM_RSRC2:TRAP_HANDLER: 0
; COMPUTE_PGM_RSRC2:TGID_X_EN: 1
; COMPUTE_PGM_RSRC2:TGID_Y_EN: 0
; COMPUTE_PGM_RSRC2:TGID_Z_EN: 0
; COMPUTE_PGM_RSRC2:TIDIG_COMP_CNT: 0
	.section	.text._ZL9mul_mat_fI7__half2Li32ELi3ELi8ELb1EEvPKT_PKfPKiPfiiiiiiiiiiiiiiii,"axG",@progbits,_ZL9mul_mat_fI7__half2Li32ELi3ELi8ELb1EEvPKT_PKfPKiPfiiiiiiiiiiiiiiii,comdat
	.globl	_ZL9mul_mat_fI7__half2Li32ELi3ELi8ELb1EEvPKT_PKfPKiPfiiiiiiiiiiiiiiii ; -- Begin function _ZL9mul_mat_fI7__half2Li32ELi3ELi8ELb1EEvPKT_PKfPKiPfiiiiiiiiiiiiiiii
	.p2align	8
	.type	_ZL9mul_mat_fI7__half2Li32ELi3ELi8ELb1EEvPKT_PKfPKiPfiiiiiiiiiiiiiiii,@function
_ZL9mul_mat_fI7__half2Li32ELi3ELi8ELb1EEvPKT_PKfPKiPfiiiiiiiiiiiiiiii: ; @_ZL9mul_mat_fI7__half2Li32ELi3ELi8ELb1EEvPKT_PKfPKiPfiiiiiiiiiiiiiiii
; %bb.0:
	s_add_u32 s0, s0, s7
	s_addc_u32 s1, s1, 0
	s_add_u32 s8, s4, 0x60
	s_addc_u32 s9, s5, 0
	s_getpc_b64 s[4:5]
	s_add_u32 s4, s4, __FUNCTION__._ZL9mul_mat_fIfLi32ELi3ELi1ELb1EEvPKT_PKfPKiPfiiiiiiiiiiiiiiii@rel32@lo+4
	s_addc_u32 s5, s5, __FUNCTION__._ZL9mul_mat_fIfLi32ELi3ELi1ELb1EEvPKT_PKfPKiPfiiiiiiiiiiiiiiii@rel32@hi+12
	s_getpc_b64 s[6:7]
	s_add_u32 s6, s6, _ZL14no_device_codePKciS0_iS0_@rel32@lo+4
	s_addc_u32 s7, s7, _ZL14no_device_codePKciS0_iS0_@rel32@hi+12
	v_mov_b32_e32 v0, 0x124
	v_mov_b32_e32 v1, s4
	;; [unrolled: 1-line block ×3, first 2 shown]
	s_mov_b32 s32, 0
	s_swappc_b64 s[30:31], s[6:7]
	.section	.rodata,"a",@progbits
	.p2align	6, 0x0
	.amdhsa_kernel _ZL9mul_mat_fI7__half2Li32ELi3ELi8ELb1EEvPKT_PKfPKiPfiiiiiiiiiiiiiiii
		.amdhsa_group_segment_fixed_size 0
		.amdhsa_private_segment_fixed_size 16
		.amdhsa_kernarg_size 352
		.amdhsa_user_sgpr_count 6
		.amdhsa_user_sgpr_private_segment_buffer 1
		.amdhsa_user_sgpr_dispatch_ptr 0
		.amdhsa_user_sgpr_queue_ptr 0
		.amdhsa_user_sgpr_kernarg_segment_ptr 1
		.amdhsa_user_sgpr_dispatch_id 0
		.amdhsa_user_sgpr_flat_scratch_init 0
		.amdhsa_user_sgpr_private_segment_size 0
		.amdhsa_uses_dynamic_stack 0
		.amdhsa_system_sgpr_private_segment_wavefront_offset 1
		.amdhsa_system_sgpr_workgroup_id_x 1
		.amdhsa_system_sgpr_workgroup_id_y 0
		.amdhsa_system_sgpr_workgroup_id_z 0
		.amdhsa_system_sgpr_workgroup_info 0
		.amdhsa_system_vgpr_workitem_id 0
		.amdhsa_next_free_vgpr 38
		.amdhsa_next_free_sgpr 34
		.amdhsa_reserve_vcc 1
		.amdhsa_reserve_flat_scratch 0
		.amdhsa_float_round_mode_32 0
		.amdhsa_float_round_mode_16_64 0
		.amdhsa_float_denorm_mode_32 3
		.amdhsa_float_denorm_mode_16_64 3
		.amdhsa_dx10_clamp 1
		.amdhsa_ieee_mode 1
		.amdhsa_fp16_overflow 0
		.amdhsa_exception_fp_ieee_invalid_op 0
		.amdhsa_exception_fp_denorm_src 0
		.amdhsa_exception_fp_ieee_div_zero 0
		.amdhsa_exception_fp_ieee_overflow 0
		.amdhsa_exception_fp_ieee_underflow 0
		.amdhsa_exception_fp_ieee_inexact 0
		.amdhsa_exception_int_div_zero 0
	.end_amdhsa_kernel
	.section	.text._ZL9mul_mat_fI7__half2Li32ELi3ELi8ELb1EEvPKT_PKfPKiPfiiiiiiiiiiiiiiii,"axG",@progbits,_ZL9mul_mat_fI7__half2Li32ELi3ELi8ELb1EEvPKT_PKfPKiPfiiiiiiiiiiiiiiii,comdat
.Lfunc_end49:
	.size	_ZL9mul_mat_fI7__half2Li32ELi3ELi8ELb1EEvPKT_PKfPKiPfiiiiiiiiiiiiiiii, .Lfunc_end49-_ZL9mul_mat_fI7__half2Li32ELi3ELi8ELb1EEvPKT_PKfPKiPfiiiiiiiiiiiiiiii
                                        ; -- End function
	.set _ZL9mul_mat_fI7__half2Li32ELi3ELi8ELb1EEvPKT_PKfPKiPfiiiiiiiiiiiiiiii.num_vgpr, max(3, .L_ZL14no_device_codePKciS0_iS0_.num_vgpr)
	.set _ZL9mul_mat_fI7__half2Li32ELi3ELi8ELb1EEvPKT_PKfPKiPfiiiiiiiiiiiiiiii.num_agpr, max(0, .L_ZL14no_device_codePKciS0_iS0_.num_agpr)
	.set _ZL9mul_mat_fI7__half2Li32ELi3ELi8ELb1EEvPKT_PKfPKiPfiiiiiiiiiiiiiiii.numbered_sgpr, max(33, .L_ZL14no_device_codePKciS0_iS0_.numbered_sgpr)
	.set _ZL9mul_mat_fI7__half2Li32ELi3ELi8ELb1EEvPKT_PKfPKiPfiiiiiiiiiiiiiiii.num_named_barrier, max(0, .L_ZL14no_device_codePKciS0_iS0_.num_named_barrier)
	.set _ZL9mul_mat_fI7__half2Li32ELi3ELi8ELb1EEvPKT_PKfPKiPfiiiiiiiiiiiiiiii.private_seg_size, 0+max(.L_ZL14no_device_codePKciS0_iS0_.private_seg_size)
	.set _ZL9mul_mat_fI7__half2Li32ELi3ELi8ELb1EEvPKT_PKfPKiPfiiiiiiiiiiiiiiii.uses_vcc, or(1, .L_ZL14no_device_codePKciS0_iS0_.uses_vcc)
	.set _ZL9mul_mat_fI7__half2Li32ELi3ELi8ELb1EEvPKT_PKfPKiPfiiiiiiiiiiiiiiii.uses_flat_scratch, or(0, .L_ZL14no_device_codePKciS0_iS0_.uses_flat_scratch)
	.set _ZL9mul_mat_fI7__half2Li32ELi3ELi8ELb1EEvPKT_PKfPKiPfiiiiiiiiiiiiiiii.has_dyn_sized_stack, or(0, .L_ZL14no_device_codePKciS0_iS0_.has_dyn_sized_stack)
	.set _ZL9mul_mat_fI7__half2Li32ELi3ELi8ELb1EEvPKT_PKfPKiPfiiiiiiiiiiiiiiii.has_recursion, or(0, .L_ZL14no_device_codePKciS0_iS0_.has_recursion)
	.set _ZL9mul_mat_fI7__half2Li32ELi3ELi8ELb1EEvPKT_PKfPKiPfiiiiiiiiiiiiiiii.has_indirect_call, or(0, .L_ZL14no_device_codePKciS0_iS0_.has_indirect_call)
	.section	.AMDGPU.csdata,"",@progbits
; Kernel info:
; codeLenInByte = 84
; TotalNumSgprs: 38
; NumVgprs: 38
; ScratchSize: 16
; MemoryBound: 0
; FloatMode: 240
; IeeeMode: 1
; LDSByteSize: 0 bytes/workgroup (compile time only)
; SGPRBlocks: 4
; VGPRBlocks: 9
; NumSGPRsForWavesPerEU: 38
; NumVGPRsForWavesPerEU: 38
; Occupancy: 6
; WaveLimiterHint : 1
; COMPUTE_PGM_RSRC2:SCRATCH_EN: 1
; COMPUTE_PGM_RSRC2:USER_SGPR: 6
; COMPUTE_PGM_RSRC2:TRAP_HANDLER: 0
; COMPUTE_PGM_RSRC2:TGID_X_EN: 1
; COMPUTE_PGM_RSRC2:TGID_Y_EN: 0
; COMPUTE_PGM_RSRC2:TGID_Z_EN: 0
; COMPUTE_PGM_RSRC2:TIDIG_COMP_CNT: 0
	.section	.text._ZL9mul_mat_fI7__half2Li32ELi3ELi8ELb0EEvPKT_PKfPKiPfiiiiiiiiiiiiiiii,"axG",@progbits,_ZL9mul_mat_fI7__half2Li32ELi3ELi8ELb0EEvPKT_PKfPKiPfiiiiiiiiiiiiiiii,comdat
	.globl	_ZL9mul_mat_fI7__half2Li32ELi3ELi8ELb0EEvPKT_PKfPKiPfiiiiiiiiiiiiiiii ; -- Begin function _ZL9mul_mat_fI7__half2Li32ELi3ELi8ELb0EEvPKT_PKfPKiPfiiiiiiiiiiiiiiii
	.p2align	8
	.type	_ZL9mul_mat_fI7__half2Li32ELi3ELi8ELb0EEvPKT_PKfPKiPfiiiiiiiiiiiiiiii,@function
_ZL9mul_mat_fI7__half2Li32ELi3ELi8ELb0EEvPKT_PKfPKiPfiiiiiiiiiiiiiiii: ; @_ZL9mul_mat_fI7__half2Li32ELi3ELi8ELb0EEvPKT_PKfPKiPfiiiiiiiiiiiiiiii
; %bb.0:
	s_add_u32 s0, s0, s7
	s_addc_u32 s1, s1, 0
	s_add_u32 s8, s4, 0x60
	s_addc_u32 s9, s5, 0
	s_getpc_b64 s[4:5]
	s_add_u32 s4, s4, __FUNCTION__._ZL9mul_mat_fIfLi32ELi3ELi1ELb1EEvPKT_PKfPKiPfiiiiiiiiiiiiiiii@rel32@lo+4
	s_addc_u32 s5, s5, __FUNCTION__._ZL9mul_mat_fIfLi32ELi3ELi1ELb1EEvPKT_PKfPKiPfiiiiiiiiiiiiiiii@rel32@hi+12
	s_getpc_b64 s[6:7]
	s_add_u32 s6, s6, _ZL14no_device_codePKciS0_iS0_@rel32@lo+4
	s_addc_u32 s7, s7, _ZL14no_device_codePKciS0_iS0_@rel32@hi+12
	v_mov_b32_e32 v0, 0x124
	v_mov_b32_e32 v1, s4
	;; [unrolled: 1-line block ×3, first 2 shown]
	s_mov_b32 s32, 0
	s_swappc_b64 s[30:31], s[6:7]
	.section	.rodata,"a",@progbits
	.p2align	6, 0x0
	.amdhsa_kernel _ZL9mul_mat_fI7__half2Li32ELi3ELi8ELb0EEvPKT_PKfPKiPfiiiiiiiiiiiiiiii
		.amdhsa_group_segment_fixed_size 0
		.amdhsa_private_segment_fixed_size 16
		.amdhsa_kernarg_size 352
		.amdhsa_user_sgpr_count 6
		.amdhsa_user_sgpr_private_segment_buffer 1
		.amdhsa_user_sgpr_dispatch_ptr 0
		.amdhsa_user_sgpr_queue_ptr 0
		.amdhsa_user_sgpr_kernarg_segment_ptr 1
		.amdhsa_user_sgpr_dispatch_id 0
		.amdhsa_user_sgpr_flat_scratch_init 0
		.amdhsa_user_sgpr_private_segment_size 0
		.amdhsa_uses_dynamic_stack 0
		.amdhsa_system_sgpr_private_segment_wavefront_offset 1
		.amdhsa_system_sgpr_workgroup_id_x 1
		.amdhsa_system_sgpr_workgroup_id_y 0
		.amdhsa_system_sgpr_workgroup_id_z 0
		.amdhsa_system_sgpr_workgroup_info 0
		.amdhsa_system_vgpr_workitem_id 0
		.amdhsa_next_free_vgpr 38
		.amdhsa_next_free_sgpr 34
		.amdhsa_reserve_vcc 1
		.amdhsa_reserve_flat_scratch 0
		.amdhsa_float_round_mode_32 0
		.amdhsa_float_round_mode_16_64 0
		.amdhsa_float_denorm_mode_32 3
		.amdhsa_float_denorm_mode_16_64 3
		.amdhsa_dx10_clamp 1
		.amdhsa_ieee_mode 1
		.amdhsa_fp16_overflow 0
		.amdhsa_exception_fp_ieee_invalid_op 0
		.amdhsa_exception_fp_denorm_src 0
		.amdhsa_exception_fp_ieee_div_zero 0
		.amdhsa_exception_fp_ieee_overflow 0
		.amdhsa_exception_fp_ieee_underflow 0
		.amdhsa_exception_fp_ieee_inexact 0
		.amdhsa_exception_int_div_zero 0
	.end_amdhsa_kernel
	.section	.text._ZL9mul_mat_fI7__half2Li32ELi3ELi8ELb0EEvPKT_PKfPKiPfiiiiiiiiiiiiiiii,"axG",@progbits,_ZL9mul_mat_fI7__half2Li32ELi3ELi8ELb0EEvPKT_PKfPKiPfiiiiiiiiiiiiiiii,comdat
.Lfunc_end50:
	.size	_ZL9mul_mat_fI7__half2Li32ELi3ELi8ELb0EEvPKT_PKfPKiPfiiiiiiiiiiiiiiii, .Lfunc_end50-_ZL9mul_mat_fI7__half2Li32ELi3ELi8ELb0EEvPKT_PKfPKiPfiiiiiiiiiiiiiiii
                                        ; -- End function
	.set _ZL9mul_mat_fI7__half2Li32ELi3ELi8ELb0EEvPKT_PKfPKiPfiiiiiiiiiiiiiiii.num_vgpr, max(3, .L_ZL14no_device_codePKciS0_iS0_.num_vgpr)
	.set _ZL9mul_mat_fI7__half2Li32ELi3ELi8ELb0EEvPKT_PKfPKiPfiiiiiiiiiiiiiiii.num_agpr, max(0, .L_ZL14no_device_codePKciS0_iS0_.num_agpr)
	.set _ZL9mul_mat_fI7__half2Li32ELi3ELi8ELb0EEvPKT_PKfPKiPfiiiiiiiiiiiiiiii.numbered_sgpr, max(33, .L_ZL14no_device_codePKciS0_iS0_.numbered_sgpr)
	.set _ZL9mul_mat_fI7__half2Li32ELi3ELi8ELb0EEvPKT_PKfPKiPfiiiiiiiiiiiiiiii.num_named_barrier, max(0, .L_ZL14no_device_codePKciS0_iS0_.num_named_barrier)
	.set _ZL9mul_mat_fI7__half2Li32ELi3ELi8ELb0EEvPKT_PKfPKiPfiiiiiiiiiiiiiiii.private_seg_size, 0+max(.L_ZL14no_device_codePKciS0_iS0_.private_seg_size)
	.set _ZL9mul_mat_fI7__half2Li32ELi3ELi8ELb0EEvPKT_PKfPKiPfiiiiiiiiiiiiiiii.uses_vcc, or(1, .L_ZL14no_device_codePKciS0_iS0_.uses_vcc)
	.set _ZL9mul_mat_fI7__half2Li32ELi3ELi8ELb0EEvPKT_PKfPKiPfiiiiiiiiiiiiiiii.uses_flat_scratch, or(0, .L_ZL14no_device_codePKciS0_iS0_.uses_flat_scratch)
	.set _ZL9mul_mat_fI7__half2Li32ELi3ELi8ELb0EEvPKT_PKfPKiPfiiiiiiiiiiiiiiii.has_dyn_sized_stack, or(0, .L_ZL14no_device_codePKciS0_iS0_.has_dyn_sized_stack)
	.set _ZL9mul_mat_fI7__half2Li32ELi3ELi8ELb0EEvPKT_PKfPKiPfiiiiiiiiiiiiiiii.has_recursion, or(0, .L_ZL14no_device_codePKciS0_iS0_.has_recursion)
	.set _ZL9mul_mat_fI7__half2Li32ELi3ELi8ELb0EEvPKT_PKfPKiPfiiiiiiiiiiiiiiii.has_indirect_call, or(0, .L_ZL14no_device_codePKciS0_iS0_.has_indirect_call)
	.section	.AMDGPU.csdata,"",@progbits
; Kernel info:
; codeLenInByte = 84
; TotalNumSgprs: 38
; NumVgprs: 38
; ScratchSize: 16
; MemoryBound: 0
; FloatMode: 240
; IeeeMode: 1
; LDSByteSize: 0 bytes/workgroup (compile time only)
; SGPRBlocks: 4
; VGPRBlocks: 9
; NumSGPRsForWavesPerEU: 38
; NumVGPRsForWavesPerEU: 38
; Occupancy: 6
; WaveLimiterHint : 1
; COMPUTE_PGM_RSRC2:SCRATCH_EN: 1
; COMPUTE_PGM_RSRC2:USER_SGPR: 6
; COMPUTE_PGM_RSRC2:TRAP_HANDLER: 0
; COMPUTE_PGM_RSRC2:TGID_X_EN: 1
; COMPUTE_PGM_RSRC2:TGID_Y_EN: 0
; COMPUTE_PGM_RSRC2:TGID_Z_EN: 0
; COMPUTE_PGM_RSRC2:TIDIG_COMP_CNT: 0
	.section	.text._ZL13mul_mat_f_idsI15__hip_bfloat162Li32ELi3ELi1EEvPKT_PKfPKiS7_S7_Pfiiiiiiiiiiiiii15HIP_vector_typeIjLj3EESA_,"axG",@progbits,_ZL13mul_mat_f_idsI15__hip_bfloat162Li32ELi3ELi1EEvPKT_PKfPKiS7_S7_Pfiiiiiiiiiiiiii15HIP_vector_typeIjLj3EESA_,comdat
	.globl	_ZL13mul_mat_f_idsI15__hip_bfloat162Li32ELi3ELi1EEvPKT_PKfPKiS7_S7_Pfiiiiiiiiiiiiii15HIP_vector_typeIjLj3EESA_ ; -- Begin function _ZL13mul_mat_f_idsI15__hip_bfloat162Li32ELi3ELi1EEvPKT_PKfPKiS7_S7_Pfiiiiiiiiiiiiii15HIP_vector_typeIjLj3EESA_
	.p2align	8
	.type	_ZL13mul_mat_f_idsI15__hip_bfloat162Li32ELi3ELi1EEvPKT_PKfPKiS7_S7_Pfiiiiiiiiiiiiii15HIP_vector_typeIjLj3EESA_,@function
_ZL13mul_mat_f_idsI15__hip_bfloat162Li32ELi3ELi1EEvPKT_PKfPKiS7_S7_Pfiiiiiiiiiiiiii15HIP_vector_typeIjLj3EESA_: ; @_ZL13mul_mat_f_idsI15__hip_bfloat162Li32ELi3ELi1EEvPKT_PKfPKiS7_S7_Pfiiiiiiiiiiiiii15HIP_vector_typeIjLj3EESA_
; %bb.0:
	s_add_u32 s0, s0, s7
	s_addc_u32 s1, s1, 0
	s_add_u32 s8, s4, 0x80
	s_addc_u32 s9, s5, 0
	s_getpc_b64 s[4:5]
	s_add_u32 s4, s4, __FUNCTION__._ZL13mul_mat_f_idsIfLi32ELi3ELi1EEvPKT_PKfPKiS6_S6_Pfiiiiiiiiiiiiii15HIP_vector_typeIjLj3EES9_@rel32@lo+4
	s_addc_u32 s5, s5, __FUNCTION__._ZL13mul_mat_f_idsIfLi32ELi3ELi1EEvPKT_PKfPKiS6_S6_Pfiiiiiiiiiiiiii15HIP_vector_typeIjLj3EES9_@rel32@hi+12
	s_getpc_b64 s[6:7]
	s_add_u32 s6, s6, _ZL14no_device_codePKciS0_iS0_@rel32@lo+4
	s_addc_u32 s7, s7, _ZL14no_device_codePKciS0_iS0_@rel32@hi+12
	v_mov_b32_e32 v0, 0x238
	v_mov_b32_e32 v1, s4
	;; [unrolled: 1-line block ×3, first 2 shown]
	s_mov_b32 s32, 0
	s_swappc_b64 s[30:31], s[6:7]
	.section	.rodata,"a",@progbits
	.p2align	6, 0x0
	.amdhsa_kernel _ZL13mul_mat_f_idsI15__hip_bfloat162Li32ELi3ELi1EEvPKT_PKfPKiS7_S7_Pfiiiiiiiiiiiiii15HIP_vector_typeIjLj3EESA_
		.amdhsa_group_segment_fixed_size 0
		.amdhsa_private_segment_fixed_size 16
		.amdhsa_kernarg_size 384
		.amdhsa_user_sgpr_count 6
		.amdhsa_user_sgpr_private_segment_buffer 1
		.amdhsa_user_sgpr_dispatch_ptr 0
		.amdhsa_user_sgpr_queue_ptr 0
		.amdhsa_user_sgpr_kernarg_segment_ptr 1
		.amdhsa_user_sgpr_dispatch_id 0
		.amdhsa_user_sgpr_flat_scratch_init 0
		.amdhsa_user_sgpr_private_segment_size 0
		.amdhsa_uses_dynamic_stack 0
		.amdhsa_system_sgpr_private_segment_wavefront_offset 1
		.amdhsa_system_sgpr_workgroup_id_x 1
		.amdhsa_system_sgpr_workgroup_id_y 0
		.amdhsa_system_sgpr_workgroup_id_z 0
		.amdhsa_system_sgpr_workgroup_info 0
		.amdhsa_system_vgpr_workitem_id 0
		.amdhsa_next_free_vgpr 38
		.amdhsa_next_free_sgpr 34
		.amdhsa_reserve_vcc 1
		.amdhsa_reserve_flat_scratch 0
		.amdhsa_float_round_mode_32 0
		.amdhsa_float_round_mode_16_64 0
		.amdhsa_float_denorm_mode_32 3
		.amdhsa_float_denorm_mode_16_64 3
		.amdhsa_dx10_clamp 1
		.amdhsa_ieee_mode 1
		.amdhsa_fp16_overflow 0
		.amdhsa_exception_fp_ieee_invalid_op 0
		.amdhsa_exception_fp_denorm_src 0
		.amdhsa_exception_fp_ieee_div_zero 0
		.amdhsa_exception_fp_ieee_overflow 0
		.amdhsa_exception_fp_ieee_underflow 0
		.amdhsa_exception_fp_ieee_inexact 0
		.amdhsa_exception_int_div_zero 0
	.end_amdhsa_kernel
	.section	.text._ZL13mul_mat_f_idsI15__hip_bfloat162Li32ELi3ELi1EEvPKT_PKfPKiS7_S7_Pfiiiiiiiiiiiiii15HIP_vector_typeIjLj3EESA_,"axG",@progbits,_ZL13mul_mat_f_idsI15__hip_bfloat162Li32ELi3ELi1EEvPKT_PKfPKiS7_S7_Pfiiiiiiiiiiiiii15HIP_vector_typeIjLj3EESA_,comdat
.Lfunc_end51:
	.size	_ZL13mul_mat_f_idsI15__hip_bfloat162Li32ELi3ELi1EEvPKT_PKfPKiS7_S7_Pfiiiiiiiiiiiiii15HIP_vector_typeIjLj3EESA_, .Lfunc_end51-_ZL13mul_mat_f_idsI15__hip_bfloat162Li32ELi3ELi1EEvPKT_PKfPKiS7_S7_Pfiiiiiiiiiiiiii15HIP_vector_typeIjLj3EESA_
                                        ; -- End function
	.set _ZL13mul_mat_f_idsI15__hip_bfloat162Li32ELi3ELi1EEvPKT_PKfPKiS7_S7_Pfiiiiiiiiiiiiii15HIP_vector_typeIjLj3EESA_.num_vgpr, max(3, .L_ZL14no_device_codePKciS0_iS0_.num_vgpr)
	.set _ZL13mul_mat_f_idsI15__hip_bfloat162Li32ELi3ELi1EEvPKT_PKfPKiS7_S7_Pfiiiiiiiiiiiiii15HIP_vector_typeIjLj3EESA_.num_agpr, max(0, .L_ZL14no_device_codePKciS0_iS0_.num_agpr)
	.set _ZL13mul_mat_f_idsI15__hip_bfloat162Li32ELi3ELi1EEvPKT_PKfPKiS7_S7_Pfiiiiiiiiiiiiii15HIP_vector_typeIjLj3EESA_.numbered_sgpr, max(33, .L_ZL14no_device_codePKciS0_iS0_.numbered_sgpr)
	.set _ZL13mul_mat_f_idsI15__hip_bfloat162Li32ELi3ELi1EEvPKT_PKfPKiS7_S7_Pfiiiiiiiiiiiiii15HIP_vector_typeIjLj3EESA_.num_named_barrier, max(0, .L_ZL14no_device_codePKciS0_iS0_.num_named_barrier)
	.set _ZL13mul_mat_f_idsI15__hip_bfloat162Li32ELi3ELi1EEvPKT_PKfPKiS7_S7_Pfiiiiiiiiiiiiii15HIP_vector_typeIjLj3EESA_.private_seg_size, 0+max(.L_ZL14no_device_codePKciS0_iS0_.private_seg_size)
	.set _ZL13mul_mat_f_idsI15__hip_bfloat162Li32ELi3ELi1EEvPKT_PKfPKiS7_S7_Pfiiiiiiiiiiiiii15HIP_vector_typeIjLj3EESA_.uses_vcc, or(1, .L_ZL14no_device_codePKciS0_iS0_.uses_vcc)
	.set _ZL13mul_mat_f_idsI15__hip_bfloat162Li32ELi3ELi1EEvPKT_PKfPKiS7_S7_Pfiiiiiiiiiiiiii15HIP_vector_typeIjLj3EESA_.uses_flat_scratch, or(0, .L_ZL14no_device_codePKciS0_iS0_.uses_flat_scratch)
	.set _ZL13mul_mat_f_idsI15__hip_bfloat162Li32ELi3ELi1EEvPKT_PKfPKiS7_S7_Pfiiiiiiiiiiiiii15HIP_vector_typeIjLj3EESA_.has_dyn_sized_stack, or(0, .L_ZL14no_device_codePKciS0_iS0_.has_dyn_sized_stack)
	.set _ZL13mul_mat_f_idsI15__hip_bfloat162Li32ELi3ELi1EEvPKT_PKfPKiS7_S7_Pfiiiiiiiiiiiiii15HIP_vector_typeIjLj3EESA_.has_recursion, or(0, .L_ZL14no_device_codePKciS0_iS0_.has_recursion)
	.set _ZL13mul_mat_f_idsI15__hip_bfloat162Li32ELi3ELi1EEvPKT_PKfPKiS7_S7_Pfiiiiiiiiiiiiii15HIP_vector_typeIjLj3EESA_.has_indirect_call, or(0, .L_ZL14no_device_codePKciS0_iS0_.has_indirect_call)
	.section	.AMDGPU.csdata,"",@progbits
; Kernel info:
; codeLenInByte = 84
; TotalNumSgprs: 38
; NumVgprs: 38
; ScratchSize: 16
; MemoryBound: 0
; FloatMode: 240
; IeeeMode: 1
; LDSByteSize: 0 bytes/workgroup (compile time only)
; SGPRBlocks: 4
; VGPRBlocks: 9
; NumSGPRsForWavesPerEU: 38
; NumVGPRsForWavesPerEU: 38
; Occupancy: 6
; WaveLimiterHint : 1
; COMPUTE_PGM_RSRC2:SCRATCH_EN: 1
; COMPUTE_PGM_RSRC2:USER_SGPR: 6
; COMPUTE_PGM_RSRC2:TRAP_HANDLER: 0
; COMPUTE_PGM_RSRC2:TGID_X_EN: 1
; COMPUTE_PGM_RSRC2:TGID_Y_EN: 0
; COMPUTE_PGM_RSRC2:TGID_Z_EN: 0
; COMPUTE_PGM_RSRC2:TIDIG_COMP_CNT: 0
	.section	.text._ZL9mul_mat_fI15__hip_bfloat162Li32ELi3ELi1ELb1EEvPKT_PKfPKiPfiiiiiiiiiiiiiiii,"axG",@progbits,_ZL9mul_mat_fI15__hip_bfloat162Li32ELi3ELi1ELb1EEvPKT_PKfPKiPfiiiiiiiiiiiiiiii,comdat
	.globl	_ZL9mul_mat_fI15__hip_bfloat162Li32ELi3ELi1ELb1EEvPKT_PKfPKiPfiiiiiiiiiiiiiiii ; -- Begin function _ZL9mul_mat_fI15__hip_bfloat162Li32ELi3ELi1ELb1EEvPKT_PKfPKiPfiiiiiiiiiiiiiiii
	.p2align	8
	.type	_ZL9mul_mat_fI15__hip_bfloat162Li32ELi3ELi1ELb1EEvPKT_PKfPKiPfiiiiiiiiiiiiiiii,@function
_ZL9mul_mat_fI15__hip_bfloat162Li32ELi3ELi1ELb1EEvPKT_PKfPKiPfiiiiiiiiiiiiiiii: ; @_ZL9mul_mat_fI15__hip_bfloat162Li32ELi3ELi1ELb1EEvPKT_PKfPKiPfiiiiiiiiiiiiiiii
; %bb.0:
	s_add_u32 s0, s0, s7
	s_addc_u32 s1, s1, 0
	s_add_u32 s8, s4, 0x60
	s_addc_u32 s9, s5, 0
	s_getpc_b64 s[4:5]
	s_add_u32 s4, s4, __FUNCTION__._ZL9mul_mat_fIfLi32ELi3ELi1ELb1EEvPKT_PKfPKiPfiiiiiiiiiiiiiiii@rel32@lo+4
	s_addc_u32 s5, s5, __FUNCTION__._ZL9mul_mat_fIfLi32ELi3ELi1ELb1EEvPKT_PKfPKiPfiiiiiiiiiiiiiiii@rel32@hi+12
	s_getpc_b64 s[6:7]
	s_add_u32 s6, s6, _ZL14no_device_codePKciS0_iS0_@rel32@lo+4
	s_addc_u32 s7, s7, _ZL14no_device_codePKciS0_iS0_@rel32@hi+12
	v_mov_b32_e32 v0, 0x124
	v_mov_b32_e32 v1, s4
	;; [unrolled: 1-line block ×3, first 2 shown]
	s_mov_b32 s32, 0
	s_swappc_b64 s[30:31], s[6:7]
	.section	.rodata,"a",@progbits
	.p2align	6, 0x0
	.amdhsa_kernel _ZL9mul_mat_fI15__hip_bfloat162Li32ELi3ELi1ELb1EEvPKT_PKfPKiPfiiiiiiiiiiiiiiii
		.amdhsa_group_segment_fixed_size 0
		.amdhsa_private_segment_fixed_size 16
		.amdhsa_kernarg_size 352
		.amdhsa_user_sgpr_count 6
		.amdhsa_user_sgpr_private_segment_buffer 1
		.amdhsa_user_sgpr_dispatch_ptr 0
		.amdhsa_user_sgpr_queue_ptr 0
		.amdhsa_user_sgpr_kernarg_segment_ptr 1
		.amdhsa_user_sgpr_dispatch_id 0
		.amdhsa_user_sgpr_flat_scratch_init 0
		.amdhsa_user_sgpr_private_segment_size 0
		.amdhsa_uses_dynamic_stack 0
		.amdhsa_system_sgpr_private_segment_wavefront_offset 1
		.amdhsa_system_sgpr_workgroup_id_x 1
		.amdhsa_system_sgpr_workgroup_id_y 0
		.amdhsa_system_sgpr_workgroup_id_z 0
		.amdhsa_system_sgpr_workgroup_info 0
		.amdhsa_system_vgpr_workitem_id 0
		.amdhsa_next_free_vgpr 38
		.amdhsa_next_free_sgpr 34
		.amdhsa_reserve_vcc 1
		.amdhsa_reserve_flat_scratch 0
		.amdhsa_float_round_mode_32 0
		.amdhsa_float_round_mode_16_64 0
		.amdhsa_float_denorm_mode_32 3
		.amdhsa_float_denorm_mode_16_64 3
		.amdhsa_dx10_clamp 1
		.amdhsa_ieee_mode 1
		.amdhsa_fp16_overflow 0
		.amdhsa_exception_fp_ieee_invalid_op 0
		.amdhsa_exception_fp_denorm_src 0
		.amdhsa_exception_fp_ieee_div_zero 0
		.amdhsa_exception_fp_ieee_overflow 0
		.amdhsa_exception_fp_ieee_underflow 0
		.amdhsa_exception_fp_ieee_inexact 0
		.amdhsa_exception_int_div_zero 0
	.end_amdhsa_kernel
	.section	.text._ZL9mul_mat_fI15__hip_bfloat162Li32ELi3ELi1ELb1EEvPKT_PKfPKiPfiiiiiiiiiiiiiiii,"axG",@progbits,_ZL9mul_mat_fI15__hip_bfloat162Li32ELi3ELi1ELb1EEvPKT_PKfPKiPfiiiiiiiiiiiiiiii,comdat
.Lfunc_end52:
	.size	_ZL9mul_mat_fI15__hip_bfloat162Li32ELi3ELi1ELb1EEvPKT_PKfPKiPfiiiiiiiiiiiiiiii, .Lfunc_end52-_ZL9mul_mat_fI15__hip_bfloat162Li32ELi3ELi1ELb1EEvPKT_PKfPKiPfiiiiiiiiiiiiiiii
                                        ; -- End function
	.set _ZL9mul_mat_fI15__hip_bfloat162Li32ELi3ELi1ELb1EEvPKT_PKfPKiPfiiiiiiiiiiiiiiii.num_vgpr, max(3, .L_ZL14no_device_codePKciS0_iS0_.num_vgpr)
	.set _ZL9mul_mat_fI15__hip_bfloat162Li32ELi3ELi1ELb1EEvPKT_PKfPKiPfiiiiiiiiiiiiiiii.num_agpr, max(0, .L_ZL14no_device_codePKciS0_iS0_.num_agpr)
	.set _ZL9mul_mat_fI15__hip_bfloat162Li32ELi3ELi1ELb1EEvPKT_PKfPKiPfiiiiiiiiiiiiiiii.numbered_sgpr, max(33, .L_ZL14no_device_codePKciS0_iS0_.numbered_sgpr)
	.set _ZL9mul_mat_fI15__hip_bfloat162Li32ELi3ELi1ELb1EEvPKT_PKfPKiPfiiiiiiiiiiiiiiii.num_named_barrier, max(0, .L_ZL14no_device_codePKciS0_iS0_.num_named_barrier)
	.set _ZL9mul_mat_fI15__hip_bfloat162Li32ELi3ELi1ELb1EEvPKT_PKfPKiPfiiiiiiiiiiiiiiii.private_seg_size, 0+max(.L_ZL14no_device_codePKciS0_iS0_.private_seg_size)
	.set _ZL9mul_mat_fI15__hip_bfloat162Li32ELi3ELi1ELb1EEvPKT_PKfPKiPfiiiiiiiiiiiiiiii.uses_vcc, or(1, .L_ZL14no_device_codePKciS0_iS0_.uses_vcc)
	.set _ZL9mul_mat_fI15__hip_bfloat162Li32ELi3ELi1ELb1EEvPKT_PKfPKiPfiiiiiiiiiiiiiiii.uses_flat_scratch, or(0, .L_ZL14no_device_codePKciS0_iS0_.uses_flat_scratch)
	.set _ZL9mul_mat_fI15__hip_bfloat162Li32ELi3ELi1ELb1EEvPKT_PKfPKiPfiiiiiiiiiiiiiiii.has_dyn_sized_stack, or(0, .L_ZL14no_device_codePKciS0_iS0_.has_dyn_sized_stack)
	.set _ZL9mul_mat_fI15__hip_bfloat162Li32ELi3ELi1ELb1EEvPKT_PKfPKiPfiiiiiiiiiiiiiiii.has_recursion, or(0, .L_ZL14no_device_codePKciS0_iS0_.has_recursion)
	.set _ZL9mul_mat_fI15__hip_bfloat162Li32ELi3ELi1ELb1EEvPKT_PKfPKiPfiiiiiiiiiiiiiiii.has_indirect_call, or(0, .L_ZL14no_device_codePKciS0_iS0_.has_indirect_call)
	.section	.AMDGPU.csdata,"",@progbits
; Kernel info:
; codeLenInByte = 84
; TotalNumSgprs: 38
; NumVgprs: 38
; ScratchSize: 16
; MemoryBound: 0
; FloatMode: 240
; IeeeMode: 1
; LDSByteSize: 0 bytes/workgroup (compile time only)
; SGPRBlocks: 4
; VGPRBlocks: 9
; NumSGPRsForWavesPerEU: 38
; NumVGPRsForWavesPerEU: 38
; Occupancy: 6
; WaveLimiterHint : 1
; COMPUTE_PGM_RSRC2:SCRATCH_EN: 1
; COMPUTE_PGM_RSRC2:USER_SGPR: 6
; COMPUTE_PGM_RSRC2:TRAP_HANDLER: 0
; COMPUTE_PGM_RSRC2:TGID_X_EN: 1
; COMPUTE_PGM_RSRC2:TGID_Y_EN: 0
; COMPUTE_PGM_RSRC2:TGID_Z_EN: 0
; COMPUTE_PGM_RSRC2:TIDIG_COMP_CNT: 0
	.section	.text._ZL9mul_mat_fI15__hip_bfloat162Li32ELi3ELi1ELb0EEvPKT_PKfPKiPfiiiiiiiiiiiiiiii,"axG",@progbits,_ZL9mul_mat_fI15__hip_bfloat162Li32ELi3ELi1ELb0EEvPKT_PKfPKiPfiiiiiiiiiiiiiiii,comdat
	.globl	_ZL9mul_mat_fI15__hip_bfloat162Li32ELi3ELi1ELb0EEvPKT_PKfPKiPfiiiiiiiiiiiiiiii ; -- Begin function _ZL9mul_mat_fI15__hip_bfloat162Li32ELi3ELi1ELb0EEvPKT_PKfPKiPfiiiiiiiiiiiiiiii
	.p2align	8
	.type	_ZL9mul_mat_fI15__hip_bfloat162Li32ELi3ELi1ELb0EEvPKT_PKfPKiPfiiiiiiiiiiiiiiii,@function
_ZL9mul_mat_fI15__hip_bfloat162Li32ELi3ELi1ELb0EEvPKT_PKfPKiPfiiiiiiiiiiiiiiii: ; @_ZL9mul_mat_fI15__hip_bfloat162Li32ELi3ELi1ELb0EEvPKT_PKfPKiPfiiiiiiiiiiiiiiii
; %bb.0:
	s_add_u32 s0, s0, s7
	s_addc_u32 s1, s1, 0
	s_add_u32 s8, s4, 0x60
	s_addc_u32 s9, s5, 0
	s_getpc_b64 s[4:5]
	s_add_u32 s4, s4, __FUNCTION__._ZL9mul_mat_fIfLi32ELi3ELi1ELb1EEvPKT_PKfPKiPfiiiiiiiiiiiiiiii@rel32@lo+4
	s_addc_u32 s5, s5, __FUNCTION__._ZL9mul_mat_fIfLi32ELi3ELi1ELb1EEvPKT_PKfPKiPfiiiiiiiiiiiiiiii@rel32@hi+12
	s_getpc_b64 s[6:7]
	s_add_u32 s6, s6, _ZL14no_device_codePKciS0_iS0_@rel32@lo+4
	s_addc_u32 s7, s7, _ZL14no_device_codePKciS0_iS0_@rel32@hi+12
	v_mov_b32_e32 v0, 0x124
	v_mov_b32_e32 v1, s4
	;; [unrolled: 1-line block ×3, first 2 shown]
	s_mov_b32 s32, 0
	s_swappc_b64 s[30:31], s[6:7]
	.section	.rodata,"a",@progbits
	.p2align	6, 0x0
	.amdhsa_kernel _ZL9mul_mat_fI15__hip_bfloat162Li32ELi3ELi1ELb0EEvPKT_PKfPKiPfiiiiiiiiiiiiiiii
		.amdhsa_group_segment_fixed_size 0
		.amdhsa_private_segment_fixed_size 16
		.amdhsa_kernarg_size 352
		.amdhsa_user_sgpr_count 6
		.amdhsa_user_sgpr_private_segment_buffer 1
		.amdhsa_user_sgpr_dispatch_ptr 0
		.amdhsa_user_sgpr_queue_ptr 0
		.amdhsa_user_sgpr_kernarg_segment_ptr 1
		.amdhsa_user_sgpr_dispatch_id 0
		.amdhsa_user_sgpr_flat_scratch_init 0
		.amdhsa_user_sgpr_private_segment_size 0
		.amdhsa_uses_dynamic_stack 0
		.amdhsa_system_sgpr_private_segment_wavefront_offset 1
		.amdhsa_system_sgpr_workgroup_id_x 1
		.amdhsa_system_sgpr_workgroup_id_y 0
		.amdhsa_system_sgpr_workgroup_id_z 0
		.amdhsa_system_sgpr_workgroup_info 0
		.amdhsa_system_vgpr_workitem_id 0
		.amdhsa_next_free_vgpr 38
		.amdhsa_next_free_sgpr 34
		.amdhsa_reserve_vcc 1
		.amdhsa_reserve_flat_scratch 0
		.amdhsa_float_round_mode_32 0
		.amdhsa_float_round_mode_16_64 0
		.amdhsa_float_denorm_mode_32 3
		.amdhsa_float_denorm_mode_16_64 3
		.amdhsa_dx10_clamp 1
		.amdhsa_ieee_mode 1
		.amdhsa_fp16_overflow 0
		.amdhsa_exception_fp_ieee_invalid_op 0
		.amdhsa_exception_fp_denorm_src 0
		.amdhsa_exception_fp_ieee_div_zero 0
		.amdhsa_exception_fp_ieee_overflow 0
		.amdhsa_exception_fp_ieee_underflow 0
		.amdhsa_exception_fp_ieee_inexact 0
		.amdhsa_exception_int_div_zero 0
	.end_amdhsa_kernel
	.section	.text._ZL9mul_mat_fI15__hip_bfloat162Li32ELi3ELi1ELb0EEvPKT_PKfPKiPfiiiiiiiiiiiiiiii,"axG",@progbits,_ZL9mul_mat_fI15__hip_bfloat162Li32ELi3ELi1ELb0EEvPKT_PKfPKiPfiiiiiiiiiiiiiiii,comdat
.Lfunc_end53:
	.size	_ZL9mul_mat_fI15__hip_bfloat162Li32ELi3ELi1ELb0EEvPKT_PKfPKiPfiiiiiiiiiiiiiiii, .Lfunc_end53-_ZL9mul_mat_fI15__hip_bfloat162Li32ELi3ELi1ELb0EEvPKT_PKfPKiPfiiiiiiiiiiiiiiii
                                        ; -- End function
	.set _ZL9mul_mat_fI15__hip_bfloat162Li32ELi3ELi1ELb0EEvPKT_PKfPKiPfiiiiiiiiiiiiiiii.num_vgpr, max(3, .L_ZL14no_device_codePKciS0_iS0_.num_vgpr)
	.set _ZL9mul_mat_fI15__hip_bfloat162Li32ELi3ELi1ELb0EEvPKT_PKfPKiPfiiiiiiiiiiiiiiii.num_agpr, max(0, .L_ZL14no_device_codePKciS0_iS0_.num_agpr)
	.set _ZL9mul_mat_fI15__hip_bfloat162Li32ELi3ELi1ELb0EEvPKT_PKfPKiPfiiiiiiiiiiiiiiii.numbered_sgpr, max(33, .L_ZL14no_device_codePKciS0_iS0_.numbered_sgpr)
	.set _ZL9mul_mat_fI15__hip_bfloat162Li32ELi3ELi1ELb0EEvPKT_PKfPKiPfiiiiiiiiiiiiiiii.num_named_barrier, max(0, .L_ZL14no_device_codePKciS0_iS0_.num_named_barrier)
	.set _ZL9mul_mat_fI15__hip_bfloat162Li32ELi3ELi1ELb0EEvPKT_PKfPKiPfiiiiiiiiiiiiiiii.private_seg_size, 0+max(.L_ZL14no_device_codePKciS0_iS0_.private_seg_size)
	.set _ZL9mul_mat_fI15__hip_bfloat162Li32ELi3ELi1ELb0EEvPKT_PKfPKiPfiiiiiiiiiiiiiiii.uses_vcc, or(1, .L_ZL14no_device_codePKciS0_iS0_.uses_vcc)
	.set _ZL9mul_mat_fI15__hip_bfloat162Li32ELi3ELi1ELb0EEvPKT_PKfPKiPfiiiiiiiiiiiiiiii.uses_flat_scratch, or(0, .L_ZL14no_device_codePKciS0_iS0_.uses_flat_scratch)
	.set _ZL9mul_mat_fI15__hip_bfloat162Li32ELi3ELi1ELb0EEvPKT_PKfPKiPfiiiiiiiiiiiiiiii.has_dyn_sized_stack, or(0, .L_ZL14no_device_codePKciS0_iS0_.has_dyn_sized_stack)
	.set _ZL9mul_mat_fI15__hip_bfloat162Li32ELi3ELi1ELb0EEvPKT_PKfPKiPfiiiiiiiiiiiiiiii.has_recursion, or(0, .L_ZL14no_device_codePKciS0_iS0_.has_recursion)
	.set _ZL9mul_mat_fI15__hip_bfloat162Li32ELi3ELi1ELb0EEvPKT_PKfPKiPfiiiiiiiiiiiiiiii.has_indirect_call, or(0, .L_ZL14no_device_codePKciS0_iS0_.has_indirect_call)
	.section	.AMDGPU.csdata,"",@progbits
; Kernel info:
; codeLenInByte = 84
; TotalNumSgprs: 38
; NumVgprs: 38
; ScratchSize: 16
; MemoryBound: 0
; FloatMode: 240
; IeeeMode: 1
; LDSByteSize: 0 bytes/workgroup (compile time only)
; SGPRBlocks: 4
; VGPRBlocks: 9
; NumSGPRsForWavesPerEU: 38
; NumVGPRsForWavesPerEU: 38
; Occupancy: 6
; WaveLimiterHint : 1
; COMPUTE_PGM_RSRC2:SCRATCH_EN: 1
; COMPUTE_PGM_RSRC2:USER_SGPR: 6
; COMPUTE_PGM_RSRC2:TRAP_HANDLER: 0
; COMPUTE_PGM_RSRC2:TGID_X_EN: 1
; COMPUTE_PGM_RSRC2:TGID_Y_EN: 0
; COMPUTE_PGM_RSRC2:TGID_Z_EN: 0
; COMPUTE_PGM_RSRC2:TIDIG_COMP_CNT: 0
	.section	.text._ZL13mul_mat_f_idsI15__hip_bfloat162Li32ELi3ELi2EEvPKT_PKfPKiS7_S7_Pfiiiiiiiiiiiiii15HIP_vector_typeIjLj3EESA_,"axG",@progbits,_ZL13mul_mat_f_idsI15__hip_bfloat162Li32ELi3ELi2EEvPKT_PKfPKiS7_S7_Pfiiiiiiiiiiiiii15HIP_vector_typeIjLj3EESA_,comdat
	.globl	_ZL13mul_mat_f_idsI15__hip_bfloat162Li32ELi3ELi2EEvPKT_PKfPKiS7_S7_Pfiiiiiiiiiiiiii15HIP_vector_typeIjLj3EESA_ ; -- Begin function _ZL13mul_mat_f_idsI15__hip_bfloat162Li32ELi3ELi2EEvPKT_PKfPKiS7_S7_Pfiiiiiiiiiiiiii15HIP_vector_typeIjLj3EESA_
	.p2align	8
	.type	_ZL13mul_mat_f_idsI15__hip_bfloat162Li32ELi3ELi2EEvPKT_PKfPKiS7_S7_Pfiiiiiiiiiiiiii15HIP_vector_typeIjLj3EESA_,@function
_ZL13mul_mat_f_idsI15__hip_bfloat162Li32ELi3ELi2EEvPKT_PKfPKiS7_S7_Pfiiiiiiiiiiiiii15HIP_vector_typeIjLj3EESA_: ; @_ZL13mul_mat_f_idsI15__hip_bfloat162Li32ELi3ELi2EEvPKT_PKfPKiS7_S7_Pfiiiiiiiiiiiiii15HIP_vector_typeIjLj3EESA_
; %bb.0:
	s_add_u32 s0, s0, s7
	s_addc_u32 s1, s1, 0
	s_add_u32 s8, s4, 0x80
	s_addc_u32 s9, s5, 0
	s_getpc_b64 s[4:5]
	s_add_u32 s4, s4, __FUNCTION__._ZL13mul_mat_f_idsIfLi32ELi3ELi1EEvPKT_PKfPKiS6_S6_Pfiiiiiiiiiiiiii15HIP_vector_typeIjLj3EES9_@rel32@lo+4
	s_addc_u32 s5, s5, __FUNCTION__._ZL13mul_mat_f_idsIfLi32ELi3ELi1EEvPKT_PKfPKiS6_S6_Pfiiiiiiiiiiiiii15HIP_vector_typeIjLj3EES9_@rel32@hi+12
	s_getpc_b64 s[6:7]
	s_add_u32 s6, s6, _ZL14no_device_codePKciS0_iS0_@rel32@lo+4
	s_addc_u32 s7, s7, _ZL14no_device_codePKciS0_iS0_@rel32@hi+12
	v_mov_b32_e32 v0, 0x238
	v_mov_b32_e32 v1, s4
	;; [unrolled: 1-line block ×3, first 2 shown]
	s_mov_b32 s32, 0
	s_swappc_b64 s[30:31], s[6:7]
	.section	.rodata,"a",@progbits
	.p2align	6, 0x0
	.amdhsa_kernel _ZL13mul_mat_f_idsI15__hip_bfloat162Li32ELi3ELi2EEvPKT_PKfPKiS7_S7_Pfiiiiiiiiiiiiii15HIP_vector_typeIjLj3EESA_
		.amdhsa_group_segment_fixed_size 0
		.amdhsa_private_segment_fixed_size 16
		.amdhsa_kernarg_size 384
		.amdhsa_user_sgpr_count 6
		.amdhsa_user_sgpr_private_segment_buffer 1
		.amdhsa_user_sgpr_dispatch_ptr 0
		.amdhsa_user_sgpr_queue_ptr 0
		.amdhsa_user_sgpr_kernarg_segment_ptr 1
		.amdhsa_user_sgpr_dispatch_id 0
		.amdhsa_user_sgpr_flat_scratch_init 0
		.amdhsa_user_sgpr_private_segment_size 0
		.amdhsa_uses_dynamic_stack 0
		.amdhsa_system_sgpr_private_segment_wavefront_offset 1
		.amdhsa_system_sgpr_workgroup_id_x 1
		.amdhsa_system_sgpr_workgroup_id_y 0
		.amdhsa_system_sgpr_workgroup_id_z 0
		.amdhsa_system_sgpr_workgroup_info 0
		.amdhsa_system_vgpr_workitem_id 0
		.amdhsa_next_free_vgpr 38
		.amdhsa_next_free_sgpr 34
		.amdhsa_reserve_vcc 1
		.amdhsa_reserve_flat_scratch 0
		.amdhsa_float_round_mode_32 0
		.amdhsa_float_round_mode_16_64 0
		.amdhsa_float_denorm_mode_32 3
		.amdhsa_float_denorm_mode_16_64 3
		.amdhsa_dx10_clamp 1
		.amdhsa_ieee_mode 1
		.amdhsa_fp16_overflow 0
		.amdhsa_exception_fp_ieee_invalid_op 0
		.amdhsa_exception_fp_denorm_src 0
		.amdhsa_exception_fp_ieee_div_zero 0
		.amdhsa_exception_fp_ieee_overflow 0
		.amdhsa_exception_fp_ieee_underflow 0
		.amdhsa_exception_fp_ieee_inexact 0
		.amdhsa_exception_int_div_zero 0
	.end_amdhsa_kernel
	.section	.text._ZL13mul_mat_f_idsI15__hip_bfloat162Li32ELi3ELi2EEvPKT_PKfPKiS7_S7_Pfiiiiiiiiiiiiii15HIP_vector_typeIjLj3EESA_,"axG",@progbits,_ZL13mul_mat_f_idsI15__hip_bfloat162Li32ELi3ELi2EEvPKT_PKfPKiS7_S7_Pfiiiiiiiiiiiiii15HIP_vector_typeIjLj3EESA_,comdat
.Lfunc_end54:
	.size	_ZL13mul_mat_f_idsI15__hip_bfloat162Li32ELi3ELi2EEvPKT_PKfPKiS7_S7_Pfiiiiiiiiiiiiii15HIP_vector_typeIjLj3EESA_, .Lfunc_end54-_ZL13mul_mat_f_idsI15__hip_bfloat162Li32ELi3ELi2EEvPKT_PKfPKiS7_S7_Pfiiiiiiiiiiiiii15HIP_vector_typeIjLj3EESA_
                                        ; -- End function
	.set _ZL13mul_mat_f_idsI15__hip_bfloat162Li32ELi3ELi2EEvPKT_PKfPKiS7_S7_Pfiiiiiiiiiiiiii15HIP_vector_typeIjLj3EESA_.num_vgpr, max(3, .L_ZL14no_device_codePKciS0_iS0_.num_vgpr)
	.set _ZL13mul_mat_f_idsI15__hip_bfloat162Li32ELi3ELi2EEvPKT_PKfPKiS7_S7_Pfiiiiiiiiiiiiii15HIP_vector_typeIjLj3EESA_.num_agpr, max(0, .L_ZL14no_device_codePKciS0_iS0_.num_agpr)
	.set _ZL13mul_mat_f_idsI15__hip_bfloat162Li32ELi3ELi2EEvPKT_PKfPKiS7_S7_Pfiiiiiiiiiiiiii15HIP_vector_typeIjLj3EESA_.numbered_sgpr, max(33, .L_ZL14no_device_codePKciS0_iS0_.numbered_sgpr)
	.set _ZL13mul_mat_f_idsI15__hip_bfloat162Li32ELi3ELi2EEvPKT_PKfPKiS7_S7_Pfiiiiiiiiiiiiii15HIP_vector_typeIjLj3EESA_.num_named_barrier, max(0, .L_ZL14no_device_codePKciS0_iS0_.num_named_barrier)
	.set _ZL13mul_mat_f_idsI15__hip_bfloat162Li32ELi3ELi2EEvPKT_PKfPKiS7_S7_Pfiiiiiiiiiiiiii15HIP_vector_typeIjLj3EESA_.private_seg_size, 0+max(.L_ZL14no_device_codePKciS0_iS0_.private_seg_size)
	.set _ZL13mul_mat_f_idsI15__hip_bfloat162Li32ELi3ELi2EEvPKT_PKfPKiS7_S7_Pfiiiiiiiiiiiiii15HIP_vector_typeIjLj3EESA_.uses_vcc, or(1, .L_ZL14no_device_codePKciS0_iS0_.uses_vcc)
	.set _ZL13mul_mat_f_idsI15__hip_bfloat162Li32ELi3ELi2EEvPKT_PKfPKiS7_S7_Pfiiiiiiiiiiiiii15HIP_vector_typeIjLj3EESA_.uses_flat_scratch, or(0, .L_ZL14no_device_codePKciS0_iS0_.uses_flat_scratch)
	.set _ZL13mul_mat_f_idsI15__hip_bfloat162Li32ELi3ELi2EEvPKT_PKfPKiS7_S7_Pfiiiiiiiiiiiiii15HIP_vector_typeIjLj3EESA_.has_dyn_sized_stack, or(0, .L_ZL14no_device_codePKciS0_iS0_.has_dyn_sized_stack)
	.set _ZL13mul_mat_f_idsI15__hip_bfloat162Li32ELi3ELi2EEvPKT_PKfPKiS7_S7_Pfiiiiiiiiiiiiii15HIP_vector_typeIjLj3EESA_.has_recursion, or(0, .L_ZL14no_device_codePKciS0_iS0_.has_recursion)
	.set _ZL13mul_mat_f_idsI15__hip_bfloat162Li32ELi3ELi2EEvPKT_PKfPKiS7_S7_Pfiiiiiiiiiiiiii15HIP_vector_typeIjLj3EESA_.has_indirect_call, or(0, .L_ZL14no_device_codePKciS0_iS0_.has_indirect_call)
	.section	.AMDGPU.csdata,"",@progbits
; Kernel info:
; codeLenInByte = 84
; TotalNumSgprs: 38
; NumVgprs: 38
; ScratchSize: 16
; MemoryBound: 0
; FloatMode: 240
; IeeeMode: 1
; LDSByteSize: 0 bytes/workgroup (compile time only)
; SGPRBlocks: 4
; VGPRBlocks: 9
; NumSGPRsForWavesPerEU: 38
; NumVGPRsForWavesPerEU: 38
; Occupancy: 6
; WaveLimiterHint : 1
; COMPUTE_PGM_RSRC2:SCRATCH_EN: 1
; COMPUTE_PGM_RSRC2:USER_SGPR: 6
; COMPUTE_PGM_RSRC2:TRAP_HANDLER: 0
; COMPUTE_PGM_RSRC2:TGID_X_EN: 1
; COMPUTE_PGM_RSRC2:TGID_Y_EN: 0
; COMPUTE_PGM_RSRC2:TGID_Z_EN: 0
; COMPUTE_PGM_RSRC2:TIDIG_COMP_CNT: 0
	.section	.text._ZL9mul_mat_fI15__hip_bfloat162Li32ELi3ELi2ELb1EEvPKT_PKfPKiPfiiiiiiiiiiiiiiii,"axG",@progbits,_ZL9mul_mat_fI15__hip_bfloat162Li32ELi3ELi2ELb1EEvPKT_PKfPKiPfiiiiiiiiiiiiiiii,comdat
	.globl	_ZL9mul_mat_fI15__hip_bfloat162Li32ELi3ELi2ELb1EEvPKT_PKfPKiPfiiiiiiiiiiiiiiii ; -- Begin function _ZL9mul_mat_fI15__hip_bfloat162Li32ELi3ELi2ELb1EEvPKT_PKfPKiPfiiiiiiiiiiiiiiii
	.p2align	8
	.type	_ZL9mul_mat_fI15__hip_bfloat162Li32ELi3ELi2ELb1EEvPKT_PKfPKiPfiiiiiiiiiiiiiiii,@function
_ZL9mul_mat_fI15__hip_bfloat162Li32ELi3ELi2ELb1EEvPKT_PKfPKiPfiiiiiiiiiiiiiiii: ; @_ZL9mul_mat_fI15__hip_bfloat162Li32ELi3ELi2ELb1EEvPKT_PKfPKiPfiiiiiiiiiiiiiiii
; %bb.0:
	s_add_u32 s0, s0, s7
	s_addc_u32 s1, s1, 0
	s_add_u32 s8, s4, 0x60
	s_addc_u32 s9, s5, 0
	s_getpc_b64 s[4:5]
	s_add_u32 s4, s4, __FUNCTION__._ZL9mul_mat_fIfLi32ELi3ELi1ELb1EEvPKT_PKfPKiPfiiiiiiiiiiiiiiii@rel32@lo+4
	s_addc_u32 s5, s5, __FUNCTION__._ZL9mul_mat_fIfLi32ELi3ELi1ELb1EEvPKT_PKfPKiPfiiiiiiiiiiiiiiii@rel32@hi+12
	s_getpc_b64 s[6:7]
	s_add_u32 s6, s6, _ZL14no_device_codePKciS0_iS0_@rel32@lo+4
	s_addc_u32 s7, s7, _ZL14no_device_codePKciS0_iS0_@rel32@hi+12
	v_mov_b32_e32 v0, 0x124
	v_mov_b32_e32 v1, s4
	;; [unrolled: 1-line block ×3, first 2 shown]
	s_mov_b32 s32, 0
	s_swappc_b64 s[30:31], s[6:7]
	.section	.rodata,"a",@progbits
	.p2align	6, 0x0
	.amdhsa_kernel _ZL9mul_mat_fI15__hip_bfloat162Li32ELi3ELi2ELb1EEvPKT_PKfPKiPfiiiiiiiiiiiiiiii
		.amdhsa_group_segment_fixed_size 0
		.amdhsa_private_segment_fixed_size 16
		.amdhsa_kernarg_size 352
		.amdhsa_user_sgpr_count 6
		.amdhsa_user_sgpr_private_segment_buffer 1
		.amdhsa_user_sgpr_dispatch_ptr 0
		.amdhsa_user_sgpr_queue_ptr 0
		.amdhsa_user_sgpr_kernarg_segment_ptr 1
		.amdhsa_user_sgpr_dispatch_id 0
		.amdhsa_user_sgpr_flat_scratch_init 0
		.amdhsa_user_sgpr_private_segment_size 0
		.amdhsa_uses_dynamic_stack 0
		.amdhsa_system_sgpr_private_segment_wavefront_offset 1
		.amdhsa_system_sgpr_workgroup_id_x 1
		.amdhsa_system_sgpr_workgroup_id_y 0
		.amdhsa_system_sgpr_workgroup_id_z 0
		.amdhsa_system_sgpr_workgroup_info 0
		.amdhsa_system_vgpr_workitem_id 0
		.amdhsa_next_free_vgpr 38
		.amdhsa_next_free_sgpr 34
		.amdhsa_reserve_vcc 1
		.amdhsa_reserve_flat_scratch 0
		.amdhsa_float_round_mode_32 0
		.amdhsa_float_round_mode_16_64 0
		.amdhsa_float_denorm_mode_32 3
		.amdhsa_float_denorm_mode_16_64 3
		.amdhsa_dx10_clamp 1
		.amdhsa_ieee_mode 1
		.amdhsa_fp16_overflow 0
		.amdhsa_exception_fp_ieee_invalid_op 0
		.amdhsa_exception_fp_denorm_src 0
		.amdhsa_exception_fp_ieee_div_zero 0
		.amdhsa_exception_fp_ieee_overflow 0
		.amdhsa_exception_fp_ieee_underflow 0
		.amdhsa_exception_fp_ieee_inexact 0
		.amdhsa_exception_int_div_zero 0
	.end_amdhsa_kernel
	.section	.text._ZL9mul_mat_fI15__hip_bfloat162Li32ELi3ELi2ELb1EEvPKT_PKfPKiPfiiiiiiiiiiiiiiii,"axG",@progbits,_ZL9mul_mat_fI15__hip_bfloat162Li32ELi3ELi2ELb1EEvPKT_PKfPKiPfiiiiiiiiiiiiiiii,comdat
.Lfunc_end55:
	.size	_ZL9mul_mat_fI15__hip_bfloat162Li32ELi3ELi2ELb1EEvPKT_PKfPKiPfiiiiiiiiiiiiiiii, .Lfunc_end55-_ZL9mul_mat_fI15__hip_bfloat162Li32ELi3ELi2ELb1EEvPKT_PKfPKiPfiiiiiiiiiiiiiiii
                                        ; -- End function
	.set _ZL9mul_mat_fI15__hip_bfloat162Li32ELi3ELi2ELb1EEvPKT_PKfPKiPfiiiiiiiiiiiiiiii.num_vgpr, max(3, .L_ZL14no_device_codePKciS0_iS0_.num_vgpr)
	.set _ZL9mul_mat_fI15__hip_bfloat162Li32ELi3ELi2ELb1EEvPKT_PKfPKiPfiiiiiiiiiiiiiiii.num_agpr, max(0, .L_ZL14no_device_codePKciS0_iS0_.num_agpr)
	.set _ZL9mul_mat_fI15__hip_bfloat162Li32ELi3ELi2ELb1EEvPKT_PKfPKiPfiiiiiiiiiiiiiiii.numbered_sgpr, max(33, .L_ZL14no_device_codePKciS0_iS0_.numbered_sgpr)
	.set _ZL9mul_mat_fI15__hip_bfloat162Li32ELi3ELi2ELb1EEvPKT_PKfPKiPfiiiiiiiiiiiiiiii.num_named_barrier, max(0, .L_ZL14no_device_codePKciS0_iS0_.num_named_barrier)
	.set _ZL9mul_mat_fI15__hip_bfloat162Li32ELi3ELi2ELb1EEvPKT_PKfPKiPfiiiiiiiiiiiiiiii.private_seg_size, 0+max(.L_ZL14no_device_codePKciS0_iS0_.private_seg_size)
	.set _ZL9mul_mat_fI15__hip_bfloat162Li32ELi3ELi2ELb1EEvPKT_PKfPKiPfiiiiiiiiiiiiiiii.uses_vcc, or(1, .L_ZL14no_device_codePKciS0_iS0_.uses_vcc)
	.set _ZL9mul_mat_fI15__hip_bfloat162Li32ELi3ELi2ELb1EEvPKT_PKfPKiPfiiiiiiiiiiiiiiii.uses_flat_scratch, or(0, .L_ZL14no_device_codePKciS0_iS0_.uses_flat_scratch)
	.set _ZL9mul_mat_fI15__hip_bfloat162Li32ELi3ELi2ELb1EEvPKT_PKfPKiPfiiiiiiiiiiiiiiii.has_dyn_sized_stack, or(0, .L_ZL14no_device_codePKciS0_iS0_.has_dyn_sized_stack)
	.set _ZL9mul_mat_fI15__hip_bfloat162Li32ELi3ELi2ELb1EEvPKT_PKfPKiPfiiiiiiiiiiiiiiii.has_recursion, or(0, .L_ZL14no_device_codePKciS0_iS0_.has_recursion)
	.set _ZL9mul_mat_fI15__hip_bfloat162Li32ELi3ELi2ELb1EEvPKT_PKfPKiPfiiiiiiiiiiiiiiii.has_indirect_call, or(0, .L_ZL14no_device_codePKciS0_iS0_.has_indirect_call)
	.section	.AMDGPU.csdata,"",@progbits
; Kernel info:
; codeLenInByte = 84
; TotalNumSgprs: 38
; NumVgprs: 38
; ScratchSize: 16
; MemoryBound: 0
; FloatMode: 240
; IeeeMode: 1
; LDSByteSize: 0 bytes/workgroup (compile time only)
; SGPRBlocks: 4
; VGPRBlocks: 9
; NumSGPRsForWavesPerEU: 38
; NumVGPRsForWavesPerEU: 38
; Occupancy: 6
; WaveLimiterHint : 1
; COMPUTE_PGM_RSRC2:SCRATCH_EN: 1
; COMPUTE_PGM_RSRC2:USER_SGPR: 6
; COMPUTE_PGM_RSRC2:TRAP_HANDLER: 0
; COMPUTE_PGM_RSRC2:TGID_X_EN: 1
; COMPUTE_PGM_RSRC2:TGID_Y_EN: 0
; COMPUTE_PGM_RSRC2:TGID_Z_EN: 0
; COMPUTE_PGM_RSRC2:TIDIG_COMP_CNT: 0
	.section	.text._ZL9mul_mat_fI15__hip_bfloat162Li32ELi3ELi2ELb0EEvPKT_PKfPKiPfiiiiiiiiiiiiiiii,"axG",@progbits,_ZL9mul_mat_fI15__hip_bfloat162Li32ELi3ELi2ELb0EEvPKT_PKfPKiPfiiiiiiiiiiiiiiii,comdat
	.globl	_ZL9mul_mat_fI15__hip_bfloat162Li32ELi3ELi2ELb0EEvPKT_PKfPKiPfiiiiiiiiiiiiiiii ; -- Begin function _ZL9mul_mat_fI15__hip_bfloat162Li32ELi3ELi2ELb0EEvPKT_PKfPKiPfiiiiiiiiiiiiiiii
	.p2align	8
	.type	_ZL9mul_mat_fI15__hip_bfloat162Li32ELi3ELi2ELb0EEvPKT_PKfPKiPfiiiiiiiiiiiiiiii,@function
_ZL9mul_mat_fI15__hip_bfloat162Li32ELi3ELi2ELb0EEvPKT_PKfPKiPfiiiiiiiiiiiiiiii: ; @_ZL9mul_mat_fI15__hip_bfloat162Li32ELi3ELi2ELb0EEvPKT_PKfPKiPfiiiiiiiiiiiiiiii
; %bb.0:
	s_add_u32 s0, s0, s7
	s_addc_u32 s1, s1, 0
	s_add_u32 s8, s4, 0x60
	s_addc_u32 s9, s5, 0
	s_getpc_b64 s[4:5]
	s_add_u32 s4, s4, __FUNCTION__._ZL9mul_mat_fIfLi32ELi3ELi1ELb1EEvPKT_PKfPKiPfiiiiiiiiiiiiiiii@rel32@lo+4
	s_addc_u32 s5, s5, __FUNCTION__._ZL9mul_mat_fIfLi32ELi3ELi1ELb1EEvPKT_PKfPKiPfiiiiiiiiiiiiiiii@rel32@hi+12
	s_getpc_b64 s[6:7]
	s_add_u32 s6, s6, _ZL14no_device_codePKciS0_iS0_@rel32@lo+4
	s_addc_u32 s7, s7, _ZL14no_device_codePKciS0_iS0_@rel32@hi+12
	v_mov_b32_e32 v0, 0x124
	v_mov_b32_e32 v1, s4
	;; [unrolled: 1-line block ×3, first 2 shown]
	s_mov_b32 s32, 0
	s_swappc_b64 s[30:31], s[6:7]
	.section	.rodata,"a",@progbits
	.p2align	6, 0x0
	.amdhsa_kernel _ZL9mul_mat_fI15__hip_bfloat162Li32ELi3ELi2ELb0EEvPKT_PKfPKiPfiiiiiiiiiiiiiiii
		.amdhsa_group_segment_fixed_size 0
		.amdhsa_private_segment_fixed_size 16
		.amdhsa_kernarg_size 352
		.amdhsa_user_sgpr_count 6
		.amdhsa_user_sgpr_private_segment_buffer 1
		.amdhsa_user_sgpr_dispatch_ptr 0
		.amdhsa_user_sgpr_queue_ptr 0
		.amdhsa_user_sgpr_kernarg_segment_ptr 1
		.amdhsa_user_sgpr_dispatch_id 0
		.amdhsa_user_sgpr_flat_scratch_init 0
		.amdhsa_user_sgpr_private_segment_size 0
		.amdhsa_uses_dynamic_stack 0
		.amdhsa_system_sgpr_private_segment_wavefront_offset 1
		.amdhsa_system_sgpr_workgroup_id_x 1
		.amdhsa_system_sgpr_workgroup_id_y 0
		.amdhsa_system_sgpr_workgroup_id_z 0
		.amdhsa_system_sgpr_workgroup_info 0
		.amdhsa_system_vgpr_workitem_id 0
		.amdhsa_next_free_vgpr 38
		.amdhsa_next_free_sgpr 34
		.amdhsa_reserve_vcc 1
		.amdhsa_reserve_flat_scratch 0
		.amdhsa_float_round_mode_32 0
		.amdhsa_float_round_mode_16_64 0
		.amdhsa_float_denorm_mode_32 3
		.amdhsa_float_denorm_mode_16_64 3
		.amdhsa_dx10_clamp 1
		.amdhsa_ieee_mode 1
		.amdhsa_fp16_overflow 0
		.amdhsa_exception_fp_ieee_invalid_op 0
		.amdhsa_exception_fp_denorm_src 0
		.amdhsa_exception_fp_ieee_div_zero 0
		.amdhsa_exception_fp_ieee_overflow 0
		.amdhsa_exception_fp_ieee_underflow 0
		.amdhsa_exception_fp_ieee_inexact 0
		.amdhsa_exception_int_div_zero 0
	.end_amdhsa_kernel
	.section	.text._ZL9mul_mat_fI15__hip_bfloat162Li32ELi3ELi2ELb0EEvPKT_PKfPKiPfiiiiiiiiiiiiiiii,"axG",@progbits,_ZL9mul_mat_fI15__hip_bfloat162Li32ELi3ELi2ELb0EEvPKT_PKfPKiPfiiiiiiiiiiiiiiii,comdat
.Lfunc_end56:
	.size	_ZL9mul_mat_fI15__hip_bfloat162Li32ELi3ELi2ELb0EEvPKT_PKfPKiPfiiiiiiiiiiiiiiii, .Lfunc_end56-_ZL9mul_mat_fI15__hip_bfloat162Li32ELi3ELi2ELb0EEvPKT_PKfPKiPfiiiiiiiiiiiiiiii
                                        ; -- End function
	.set _ZL9mul_mat_fI15__hip_bfloat162Li32ELi3ELi2ELb0EEvPKT_PKfPKiPfiiiiiiiiiiiiiiii.num_vgpr, max(3, .L_ZL14no_device_codePKciS0_iS0_.num_vgpr)
	.set _ZL9mul_mat_fI15__hip_bfloat162Li32ELi3ELi2ELb0EEvPKT_PKfPKiPfiiiiiiiiiiiiiiii.num_agpr, max(0, .L_ZL14no_device_codePKciS0_iS0_.num_agpr)
	.set _ZL9mul_mat_fI15__hip_bfloat162Li32ELi3ELi2ELb0EEvPKT_PKfPKiPfiiiiiiiiiiiiiiii.numbered_sgpr, max(33, .L_ZL14no_device_codePKciS0_iS0_.numbered_sgpr)
	.set _ZL9mul_mat_fI15__hip_bfloat162Li32ELi3ELi2ELb0EEvPKT_PKfPKiPfiiiiiiiiiiiiiiii.num_named_barrier, max(0, .L_ZL14no_device_codePKciS0_iS0_.num_named_barrier)
	.set _ZL9mul_mat_fI15__hip_bfloat162Li32ELi3ELi2ELb0EEvPKT_PKfPKiPfiiiiiiiiiiiiiiii.private_seg_size, 0+max(.L_ZL14no_device_codePKciS0_iS0_.private_seg_size)
	.set _ZL9mul_mat_fI15__hip_bfloat162Li32ELi3ELi2ELb0EEvPKT_PKfPKiPfiiiiiiiiiiiiiiii.uses_vcc, or(1, .L_ZL14no_device_codePKciS0_iS0_.uses_vcc)
	.set _ZL9mul_mat_fI15__hip_bfloat162Li32ELi3ELi2ELb0EEvPKT_PKfPKiPfiiiiiiiiiiiiiiii.uses_flat_scratch, or(0, .L_ZL14no_device_codePKciS0_iS0_.uses_flat_scratch)
	.set _ZL9mul_mat_fI15__hip_bfloat162Li32ELi3ELi2ELb0EEvPKT_PKfPKiPfiiiiiiiiiiiiiiii.has_dyn_sized_stack, or(0, .L_ZL14no_device_codePKciS0_iS0_.has_dyn_sized_stack)
	.set _ZL9mul_mat_fI15__hip_bfloat162Li32ELi3ELi2ELb0EEvPKT_PKfPKiPfiiiiiiiiiiiiiiii.has_recursion, or(0, .L_ZL14no_device_codePKciS0_iS0_.has_recursion)
	.set _ZL9mul_mat_fI15__hip_bfloat162Li32ELi3ELi2ELb0EEvPKT_PKfPKiPfiiiiiiiiiiiiiiii.has_indirect_call, or(0, .L_ZL14no_device_codePKciS0_iS0_.has_indirect_call)
	.section	.AMDGPU.csdata,"",@progbits
; Kernel info:
; codeLenInByte = 84
; TotalNumSgprs: 38
; NumVgprs: 38
; ScratchSize: 16
; MemoryBound: 0
; FloatMode: 240
; IeeeMode: 1
; LDSByteSize: 0 bytes/workgroup (compile time only)
; SGPRBlocks: 4
; VGPRBlocks: 9
; NumSGPRsForWavesPerEU: 38
; NumVGPRsForWavesPerEU: 38
; Occupancy: 6
; WaveLimiterHint : 1
; COMPUTE_PGM_RSRC2:SCRATCH_EN: 1
; COMPUTE_PGM_RSRC2:USER_SGPR: 6
; COMPUTE_PGM_RSRC2:TRAP_HANDLER: 0
; COMPUTE_PGM_RSRC2:TGID_X_EN: 1
; COMPUTE_PGM_RSRC2:TGID_Y_EN: 0
; COMPUTE_PGM_RSRC2:TGID_Z_EN: 0
; COMPUTE_PGM_RSRC2:TIDIG_COMP_CNT: 0
	.section	.text._ZL13mul_mat_f_idsI15__hip_bfloat162Li32ELi3ELi3EEvPKT_PKfPKiS7_S7_Pfiiiiiiiiiiiiii15HIP_vector_typeIjLj3EESA_,"axG",@progbits,_ZL13mul_mat_f_idsI15__hip_bfloat162Li32ELi3ELi3EEvPKT_PKfPKiS7_S7_Pfiiiiiiiiiiiiii15HIP_vector_typeIjLj3EESA_,comdat
	.globl	_ZL13mul_mat_f_idsI15__hip_bfloat162Li32ELi3ELi3EEvPKT_PKfPKiS7_S7_Pfiiiiiiiiiiiiii15HIP_vector_typeIjLj3EESA_ ; -- Begin function _ZL13mul_mat_f_idsI15__hip_bfloat162Li32ELi3ELi3EEvPKT_PKfPKiS7_S7_Pfiiiiiiiiiiiiii15HIP_vector_typeIjLj3EESA_
	.p2align	8
	.type	_ZL13mul_mat_f_idsI15__hip_bfloat162Li32ELi3ELi3EEvPKT_PKfPKiS7_S7_Pfiiiiiiiiiiiiii15HIP_vector_typeIjLj3EESA_,@function
_ZL13mul_mat_f_idsI15__hip_bfloat162Li32ELi3ELi3EEvPKT_PKfPKiS7_S7_Pfiiiiiiiiiiiiii15HIP_vector_typeIjLj3EESA_: ; @_ZL13mul_mat_f_idsI15__hip_bfloat162Li32ELi3ELi3EEvPKT_PKfPKiS7_S7_Pfiiiiiiiiiiiiii15HIP_vector_typeIjLj3EESA_
; %bb.0:
	s_add_u32 s0, s0, s7
	s_addc_u32 s1, s1, 0
	s_add_u32 s8, s4, 0x80
	s_addc_u32 s9, s5, 0
	s_getpc_b64 s[4:5]
	s_add_u32 s4, s4, __FUNCTION__._ZL13mul_mat_f_idsIfLi32ELi3ELi1EEvPKT_PKfPKiS6_S6_Pfiiiiiiiiiiiiii15HIP_vector_typeIjLj3EES9_@rel32@lo+4
	s_addc_u32 s5, s5, __FUNCTION__._ZL13mul_mat_f_idsIfLi32ELi3ELi1EEvPKT_PKfPKiS6_S6_Pfiiiiiiiiiiiiii15HIP_vector_typeIjLj3EES9_@rel32@hi+12
	s_getpc_b64 s[6:7]
	s_add_u32 s6, s6, _ZL14no_device_codePKciS0_iS0_@rel32@lo+4
	s_addc_u32 s7, s7, _ZL14no_device_codePKciS0_iS0_@rel32@hi+12
	v_mov_b32_e32 v0, 0x238
	v_mov_b32_e32 v1, s4
	;; [unrolled: 1-line block ×3, first 2 shown]
	s_mov_b32 s32, 0
	s_swappc_b64 s[30:31], s[6:7]
	.section	.rodata,"a",@progbits
	.p2align	6, 0x0
	.amdhsa_kernel _ZL13mul_mat_f_idsI15__hip_bfloat162Li32ELi3ELi3EEvPKT_PKfPKiS7_S7_Pfiiiiiiiiiiiiii15HIP_vector_typeIjLj3EESA_
		.amdhsa_group_segment_fixed_size 0
		.amdhsa_private_segment_fixed_size 16
		.amdhsa_kernarg_size 384
		.amdhsa_user_sgpr_count 6
		.amdhsa_user_sgpr_private_segment_buffer 1
		.amdhsa_user_sgpr_dispatch_ptr 0
		.amdhsa_user_sgpr_queue_ptr 0
		.amdhsa_user_sgpr_kernarg_segment_ptr 1
		.amdhsa_user_sgpr_dispatch_id 0
		.amdhsa_user_sgpr_flat_scratch_init 0
		.amdhsa_user_sgpr_private_segment_size 0
		.amdhsa_uses_dynamic_stack 0
		.amdhsa_system_sgpr_private_segment_wavefront_offset 1
		.amdhsa_system_sgpr_workgroup_id_x 1
		.amdhsa_system_sgpr_workgroup_id_y 0
		.amdhsa_system_sgpr_workgroup_id_z 0
		.amdhsa_system_sgpr_workgroup_info 0
		.amdhsa_system_vgpr_workitem_id 0
		.amdhsa_next_free_vgpr 38
		.amdhsa_next_free_sgpr 34
		.amdhsa_reserve_vcc 1
		.amdhsa_reserve_flat_scratch 0
		.amdhsa_float_round_mode_32 0
		.amdhsa_float_round_mode_16_64 0
		.amdhsa_float_denorm_mode_32 3
		.amdhsa_float_denorm_mode_16_64 3
		.amdhsa_dx10_clamp 1
		.amdhsa_ieee_mode 1
		.amdhsa_fp16_overflow 0
		.amdhsa_exception_fp_ieee_invalid_op 0
		.amdhsa_exception_fp_denorm_src 0
		.amdhsa_exception_fp_ieee_div_zero 0
		.amdhsa_exception_fp_ieee_overflow 0
		.amdhsa_exception_fp_ieee_underflow 0
		.amdhsa_exception_fp_ieee_inexact 0
		.amdhsa_exception_int_div_zero 0
	.end_amdhsa_kernel
	.section	.text._ZL13mul_mat_f_idsI15__hip_bfloat162Li32ELi3ELi3EEvPKT_PKfPKiS7_S7_Pfiiiiiiiiiiiiii15HIP_vector_typeIjLj3EESA_,"axG",@progbits,_ZL13mul_mat_f_idsI15__hip_bfloat162Li32ELi3ELi3EEvPKT_PKfPKiS7_S7_Pfiiiiiiiiiiiiii15HIP_vector_typeIjLj3EESA_,comdat
.Lfunc_end57:
	.size	_ZL13mul_mat_f_idsI15__hip_bfloat162Li32ELi3ELi3EEvPKT_PKfPKiS7_S7_Pfiiiiiiiiiiiiii15HIP_vector_typeIjLj3EESA_, .Lfunc_end57-_ZL13mul_mat_f_idsI15__hip_bfloat162Li32ELi3ELi3EEvPKT_PKfPKiS7_S7_Pfiiiiiiiiiiiiii15HIP_vector_typeIjLj3EESA_
                                        ; -- End function
	.set _ZL13mul_mat_f_idsI15__hip_bfloat162Li32ELi3ELi3EEvPKT_PKfPKiS7_S7_Pfiiiiiiiiiiiiii15HIP_vector_typeIjLj3EESA_.num_vgpr, max(3, .L_ZL14no_device_codePKciS0_iS0_.num_vgpr)
	.set _ZL13mul_mat_f_idsI15__hip_bfloat162Li32ELi3ELi3EEvPKT_PKfPKiS7_S7_Pfiiiiiiiiiiiiii15HIP_vector_typeIjLj3EESA_.num_agpr, max(0, .L_ZL14no_device_codePKciS0_iS0_.num_agpr)
	.set _ZL13mul_mat_f_idsI15__hip_bfloat162Li32ELi3ELi3EEvPKT_PKfPKiS7_S7_Pfiiiiiiiiiiiiii15HIP_vector_typeIjLj3EESA_.numbered_sgpr, max(33, .L_ZL14no_device_codePKciS0_iS0_.numbered_sgpr)
	.set _ZL13mul_mat_f_idsI15__hip_bfloat162Li32ELi3ELi3EEvPKT_PKfPKiS7_S7_Pfiiiiiiiiiiiiii15HIP_vector_typeIjLj3EESA_.num_named_barrier, max(0, .L_ZL14no_device_codePKciS0_iS0_.num_named_barrier)
	.set _ZL13mul_mat_f_idsI15__hip_bfloat162Li32ELi3ELi3EEvPKT_PKfPKiS7_S7_Pfiiiiiiiiiiiiii15HIP_vector_typeIjLj3EESA_.private_seg_size, 0+max(.L_ZL14no_device_codePKciS0_iS0_.private_seg_size)
	.set _ZL13mul_mat_f_idsI15__hip_bfloat162Li32ELi3ELi3EEvPKT_PKfPKiS7_S7_Pfiiiiiiiiiiiiii15HIP_vector_typeIjLj3EESA_.uses_vcc, or(1, .L_ZL14no_device_codePKciS0_iS0_.uses_vcc)
	.set _ZL13mul_mat_f_idsI15__hip_bfloat162Li32ELi3ELi3EEvPKT_PKfPKiS7_S7_Pfiiiiiiiiiiiiii15HIP_vector_typeIjLj3EESA_.uses_flat_scratch, or(0, .L_ZL14no_device_codePKciS0_iS0_.uses_flat_scratch)
	.set _ZL13mul_mat_f_idsI15__hip_bfloat162Li32ELi3ELi3EEvPKT_PKfPKiS7_S7_Pfiiiiiiiiiiiiii15HIP_vector_typeIjLj3EESA_.has_dyn_sized_stack, or(0, .L_ZL14no_device_codePKciS0_iS0_.has_dyn_sized_stack)
	.set _ZL13mul_mat_f_idsI15__hip_bfloat162Li32ELi3ELi3EEvPKT_PKfPKiS7_S7_Pfiiiiiiiiiiiiii15HIP_vector_typeIjLj3EESA_.has_recursion, or(0, .L_ZL14no_device_codePKciS0_iS0_.has_recursion)
	.set _ZL13mul_mat_f_idsI15__hip_bfloat162Li32ELi3ELi3EEvPKT_PKfPKiS7_S7_Pfiiiiiiiiiiiiii15HIP_vector_typeIjLj3EESA_.has_indirect_call, or(0, .L_ZL14no_device_codePKciS0_iS0_.has_indirect_call)
	.section	.AMDGPU.csdata,"",@progbits
; Kernel info:
; codeLenInByte = 84
; TotalNumSgprs: 38
; NumVgprs: 38
; ScratchSize: 16
; MemoryBound: 0
; FloatMode: 240
; IeeeMode: 1
; LDSByteSize: 0 bytes/workgroup (compile time only)
; SGPRBlocks: 4
; VGPRBlocks: 9
; NumSGPRsForWavesPerEU: 38
; NumVGPRsForWavesPerEU: 38
; Occupancy: 6
; WaveLimiterHint : 1
; COMPUTE_PGM_RSRC2:SCRATCH_EN: 1
; COMPUTE_PGM_RSRC2:USER_SGPR: 6
; COMPUTE_PGM_RSRC2:TRAP_HANDLER: 0
; COMPUTE_PGM_RSRC2:TGID_X_EN: 1
; COMPUTE_PGM_RSRC2:TGID_Y_EN: 0
; COMPUTE_PGM_RSRC2:TGID_Z_EN: 0
; COMPUTE_PGM_RSRC2:TIDIG_COMP_CNT: 0
	.section	.text._ZL9mul_mat_fI15__hip_bfloat162Li32ELi3ELi3ELb1EEvPKT_PKfPKiPfiiiiiiiiiiiiiiii,"axG",@progbits,_ZL9mul_mat_fI15__hip_bfloat162Li32ELi3ELi3ELb1EEvPKT_PKfPKiPfiiiiiiiiiiiiiiii,comdat
	.globl	_ZL9mul_mat_fI15__hip_bfloat162Li32ELi3ELi3ELb1EEvPKT_PKfPKiPfiiiiiiiiiiiiiiii ; -- Begin function _ZL9mul_mat_fI15__hip_bfloat162Li32ELi3ELi3ELb1EEvPKT_PKfPKiPfiiiiiiiiiiiiiiii
	.p2align	8
	.type	_ZL9mul_mat_fI15__hip_bfloat162Li32ELi3ELi3ELb1EEvPKT_PKfPKiPfiiiiiiiiiiiiiiii,@function
_ZL9mul_mat_fI15__hip_bfloat162Li32ELi3ELi3ELb1EEvPKT_PKfPKiPfiiiiiiiiiiiiiiii: ; @_ZL9mul_mat_fI15__hip_bfloat162Li32ELi3ELi3ELb1EEvPKT_PKfPKiPfiiiiiiiiiiiiiiii
; %bb.0:
	s_add_u32 s0, s0, s7
	s_addc_u32 s1, s1, 0
	s_add_u32 s8, s4, 0x60
	s_addc_u32 s9, s5, 0
	s_getpc_b64 s[4:5]
	s_add_u32 s4, s4, __FUNCTION__._ZL9mul_mat_fIfLi32ELi3ELi1ELb1EEvPKT_PKfPKiPfiiiiiiiiiiiiiiii@rel32@lo+4
	s_addc_u32 s5, s5, __FUNCTION__._ZL9mul_mat_fIfLi32ELi3ELi1ELb1EEvPKT_PKfPKiPfiiiiiiiiiiiiiiii@rel32@hi+12
	s_getpc_b64 s[6:7]
	s_add_u32 s6, s6, _ZL14no_device_codePKciS0_iS0_@rel32@lo+4
	s_addc_u32 s7, s7, _ZL14no_device_codePKciS0_iS0_@rel32@hi+12
	v_mov_b32_e32 v0, 0x124
	v_mov_b32_e32 v1, s4
	v_mov_b32_e32 v2, s5
	s_mov_b32 s32, 0
	s_swappc_b64 s[30:31], s[6:7]
	.section	.rodata,"a",@progbits
	.p2align	6, 0x0
	.amdhsa_kernel _ZL9mul_mat_fI15__hip_bfloat162Li32ELi3ELi3ELb1EEvPKT_PKfPKiPfiiiiiiiiiiiiiiii
		.amdhsa_group_segment_fixed_size 0
		.amdhsa_private_segment_fixed_size 16
		.amdhsa_kernarg_size 352
		.amdhsa_user_sgpr_count 6
		.amdhsa_user_sgpr_private_segment_buffer 1
		.amdhsa_user_sgpr_dispatch_ptr 0
		.amdhsa_user_sgpr_queue_ptr 0
		.amdhsa_user_sgpr_kernarg_segment_ptr 1
		.amdhsa_user_sgpr_dispatch_id 0
		.amdhsa_user_sgpr_flat_scratch_init 0
		.amdhsa_user_sgpr_private_segment_size 0
		.amdhsa_uses_dynamic_stack 0
		.amdhsa_system_sgpr_private_segment_wavefront_offset 1
		.amdhsa_system_sgpr_workgroup_id_x 1
		.amdhsa_system_sgpr_workgroup_id_y 0
		.amdhsa_system_sgpr_workgroup_id_z 0
		.amdhsa_system_sgpr_workgroup_info 0
		.amdhsa_system_vgpr_workitem_id 0
		.amdhsa_next_free_vgpr 38
		.amdhsa_next_free_sgpr 34
		.amdhsa_reserve_vcc 1
		.amdhsa_reserve_flat_scratch 0
		.amdhsa_float_round_mode_32 0
		.amdhsa_float_round_mode_16_64 0
		.amdhsa_float_denorm_mode_32 3
		.amdhsa_float_denorm_mode_16_64 3
		.amdhsa_dx10_clamp 1
		.amdhsa_ieee_mode 1
		.amdhsa_fp16_overflow 0
		.amdhsa_exception_fp_ieee_invalid_op 0
		.amdhsa_exception_fp_denorm_src 0
		.amdhsa_exception_fp_ieee_div_zero 0
		.amdhsa_exception_fp_ieee_overflow 0
		.amdhsa_exception_fp_ieee_underflow 0
		.amdhsa_exception_fp_ieee_inexact 0
		.amdhsa_exception_int_div_zero 0
	.end_amdhsa_kernel
	.section	.text._ZL9mul_mat_fI15__hip_bfloat162Li32ELi3ELi3ELb1EEvPKT_PKfPKiPfiiiiiiiiiiiiiiii,"axG",@progbits,_ZL9mul_mat_fI15__hip_bfloat162Li32ELi3ELi3ELb1EEvPKT_PKfPKiPfiiiiiiiiiiiiiiii,comdat
.Lfunc_end58:
	.size	_ZL9mul_mat_fI15__hip_bfloat162Li32ELi3ELi3ELb1EEvPKT_PKfPKiPfiiiiiiiiiiiiiiii, .Lfunc_end58-_ZL9mul_mat_fI15__hip_bfloat162Li32ELi3ELi3ELb1EEvPKT_PKfPKiPfiiiiiiiiiiiiiiii
                                        ; -- End function
	.set _ZL9mul_mat_fI15__hip_bfloat162Li32ELi3ELi3ELb1EEvPKT_PKfPKiPfiiiiiiiiiiiiiiii.num_vgpr, max(3, .L_ZL14no_device_codePKciS0_iS0_.num_vgpr)
	.set _ZL9mul_mat_fI15__hip_bfloat162Li32ELi3ELi3ELb1EEvPKT_PKfPKiPfiiiiiiiiiiiiiiii.num_agpr, max(0, .L_ZL14no_device_codePKciS0_iS0_.num_agpr)
	.set _ZL9mul_mat_fI15__hip_bfloat162Li32ELi3ELi3ELb1EEvPKT_PKfPKiPfiiiiiiiiiiiiiiii.numbered_sgpr, max(33, .L_ZL14no_device_codePKciS0_iS0_.numbered_sgpr)
	.set _ZL9mul_mat_fI15__hip_bfloat162Li32ELi3ELi3ELb1EEvPKT_PKfPKiPfiiiiiiiiiiiiiiii.num_named_barrier, max(0, .L_ZL14no_device_codePKciS0_iS0_.num_named_barrier)
	.set _ZL9mul_mat_fI15__hip_bfloat162Li32ELi3ELi3ELb1EEvPKT_PKfPKiPfiiiiiiiiiiiiiiii.private_seg_size, 0+max(.L_ZL14no_device_codePKciS0_iS0_.private_seg_size)
	.set _ZL9mul_mat_fI15__hip_bfloat162Li32ELi3ELi3ELb1EEvPKT_PKfPKiPfiiiiiiiiiiiiiiii.uses_vcc, or(1, .L_ZL14no_device_codePKciS0_iS0_.uses_vcc)
	.set _ZL9mul_mat_fI15__hip_bfloat162Li32ELi3ELi3ELb1EEvPKT_PKfPKiPfiiiiiiiiiiiiiiii.uses_flat_scratch, or(0, .L_ZL14no_device_codePKciS0_iS0_.uses_flat_scratch)
	.set _ZL9mul_mat_fI15__hip_bfloat162Li32ELi3ELi3ELb1EEvPKT_PKfPKiPfiiiiiiiiiiiiiiii.has_dyn_sized_stack, or(0, .L_ZL14no_device_codePKciS0_iS0_.has_dyn_sized_stack)
	.set _ZL9mul_mat_fI15__hip_bfloat162Li32ELi3ELi3ELb1EEvPKT_PKfPKiPfiiiiiiiiiiiiiiii.has_recursion, or(0, .L_ZL14no_device_codePKciS0_iS0_.has_recursion)
	.set _ZL9mul_mat_fI15__hip_bfloat162Li32ELi3ELi3ELb1EEvPKT_PKfPKiPfiiiiiiiiiiiiiiii.has_indirect_call, or(0, .L_ZL14no_device_codePKciS0_iS0_.has_indirect_call)
	.section	.AMDGPU.csdata,"",@progbits
; Kernel info:
; codeLenInByte = 84
; TotalNumSgprs: 38
; NumVgprs: 38
; ScratchSize: 16
; MemoryBound: 0
; FloatMode: 240
; IeeeMode: 1
; LDSByteSize: 0 bytes/workgroup (compile time only)
; SGPRBlocks: 4
; VGPRBlocks: 9
; NumSGPRsForWavesPerEU: 38
; NumVGPRsForWavesPerEU: 38
; Occupancy: 6
; WaveLimiterHint : 1
; COMPUTE_PGM_RSRC2:SCRATCH_EN: 1
; COMPUTE_PGM_RSRC2:USER_SGPR: 6
; COMPUTE_PGM_RSRC2:TRAP_HANDLER: 0
; COMPUTE_PGM_RSRC2:TGID_X_EN: 1
; COMPUTE_PGM_RSRC2:TGID_Y_EN: 0
; COMPUTE_PGM_RSRC2:TGID_Z_EN: 0
; COMPUTE_PGM_RSRC2:TIDIG_COMP_CNT: 0
	.section	.text._ZL9mul_mat_fI15__hip_bfloat162Li32ELi3ELi3ELb0EEvPKT_PKfPKiPfiiiiiiiiiiiiiiii,"axG",@progbits,_ZL9mul_mat_fI15__hip_bfloat162Li32ELi3ELi3ELb0EEvPKT_PKfPKiPfiiiiiiiiiiiiiiii,comdat
	.globl	_ZL9mul_mat_fI15__hip_bfloat162Li32ELi3ELi3ELb0EEvPKT_PKfPKiPfiiiiiiiiiiiiiiii ; -- Begin function _ZL9mul_mat_fI15__hip_bfloat162Li32ELi3ELi3ELb0EEvPKT_PKfPKiPfiiiiiiiiiiiiiiii
	.p2align	8
	.type	_ZL9mul_mat_fI15__hip_bfloat162Li32ELi3ELi3ELb0EEvPKT_PKfPKiPfiiiiiiiiiiiiiiii,@function
_ZL9mul_mat_fI15__hip_bfloat162Li32ELi3ELi3ELb0EEvPKT_PKfPKiPfiiiiiiiiiiiiiiii: ; @_ZL9mul_mat_fI15__hip_bfloat162Li32ELi3ELi3ELb0EEvPKT_PKfPKiPfiiiiiiiiiiiiiiii
; %bb.0:
	s_add_u32 s0, s0, s7
	s_addc_u32 s1, s1, 0
	s_add_u32 s8, s4, 0x60
	s_addc_u32 s9, s5, 0
	s_getpc_b64 s[4:5]
	s_add_u32 s4, s4, __FUNCTION__._ZL9mul_mat_fIfLi32ELi3ELi1ELb1EEvPKT_PKfPKiPfiiiiiiiiiiiiiiii@rel32@lo+4
	s_addc_u32 s5, s5, __FUNCTION__._ZL9mul_mat_fIfLi32ELi3ELi1ELb1EEvPKT_PKfPKiPfiiiiiiiiiiiiiiii@rel32@hi+12
	s_getpc_b64 s[6:7]
	s_add_u32 s6, s6, _ZL14no_device_codePKciS0_iS0_@rel32@lo+4
	s_addc_u32 s7, s7, _ZL14no_device_codePKciS0_iS0_@rel32@hi+12
	v_mov_b32_e32 v0, 0x124
	v_mov_b32_e32 v1, s4
	;; [unrolled: 1-line block ×3, first 2 shown]
	s_mov_b32 s32, 0
	s_swappc_b64 s[30:31], s[6:7]
	.section	.rodata,"a",@progbits
	.p2align	6, 0x0
	.amdhsa_kernel _ZL9mul_mat_fI15__hip_bfloat162Li32ELi3ELi3ELb0EEvPKT_PKfPKiPfiiiiiiiiiiiiiiii
		.amdhsa_group_segment_fixed_size 0
		.amdhsa_private_segment_fixed_size 16
		.amdhsa_kernarg_size 352
		.amdhsa_user_sgpr_count 6
		.amdhsa_user_sgpr_private_segment_buffer 1
		.amdhsa_user_sgpr_dispatch_ptr 0
		.amdhsa_user_sgpr_queue_ptr 0
		.amdhsa_user_sgpr_kernarg_segment_ptr 1
		.amdhsa_user_sgpr_dispatch_id 0
		.amdhsa_user_sgpr_flat_scratch_init 0
		.amdhsa_user_sgpr_private_segment_size 0
		.amdhsa_uses_dynamic_stack 0
		.amdhsa_system_sgpr_private_segment_wavefront_offset 1
		.amdhsa_system_sgpr_workgroup_id_x 1
		.amdhsa_system_sgpr_workgroup_id_y 0
		.amdhsa_system_sgpr_workgroup_id_z 0
		.amdhsa_system_sgpr_workgroup_info 0
		.amdhsa_system_vgpr_workitem_id 0
		.amdhsa_next_free_vgpr 38
		.amdhsa_next_free_sgpr 34
		.amdhsa_reserve_vcc 1
		.amdhsa_reserve_flat_scratch 0
		.amdhsa_float_round_mode_32 0
		.amdhsa_float_round_mode_16_64 0
		.amdhsa_float_denorm_mode_32 3
		.amdhsa_float_denorm_mode_16_64 3
		.amdhsa_dx10_clamp 1
		.amdhsa_ieee_mode 1
		.amdhsa_fp16_overflow 0
		.amdhsa_exception_fp_ieee_invalid_op 0
		.amdhsa_exception_fp_denorm_src 0
		.amdhsa_exception_fp_ieee_div_zero 0
		.amdhsa_exception_fp_ieee_overflow 0
		.amdhsa_exception_fp_ieee_underflow 0
		.amdhsa_exception_fp_ieee_inexact 0
		.amdhsa_exception_int_div_zero 0
	.end_amdhsa_kernel
	.section	.text._ZL9mul_mat_fI15__hip_bfloat162Li32ELi3ELi3ELb0EEvPKT_PKfPKiPfiiiiiiiiiiiiiiii,"axG",@progbits,_ZL9mul_mat_fI15__hip_bfloat162Li32ELi3ELi3ELb0EEvPKT_PKfPKiPfiiiiiiiiiiiiiiii,comdat
.Lfunc_end59:
	.size	_ZL9mul_mat_fI15__hip_bfloat162Li32ELi3ELi3ELb0EEvPKT_PKfPKiPfiiiiiiiiiiiiiiii, .Lfunc_end59-_ZL9mul_mat_fI15__hip_bfloat162Li32ELi3ELi3ELb0EEvPKT_PKfPKiPfiiiiiiiiiiiiiiii
                                        ; -- End function
	.set _ZL9mul_mat_fI15__hip_bfloat162Li32ELi3ELi3ELb0EEvPKT_PKfPKiPfiiiiiiiiiiiiiiii.num_vgpr, max(3, .L_ZL14no_device_codePKciS0_iS0_.num_vgpr)
	.set _ZL9mul_mat_fI15__hip_bfloat162Li32ELi3ELi3ELb0EEvPKT_PKfPKiPfiiiiiiiiiiiiiiii.num_agpr, max(0, .L_ZL14no_device_codePKciS0_iS0_.num_agpr)
	.set _ZL9mul_mat_fI15__hip_bfloat162Li32ELi3ELi3ELb0EEvPKT_PKfPKiPfiiiiiiiiiiiiiiii.numbered_sgpr, max(33, .L_ZL14no_device_codePKciS0_iS0_.numbered_sgpr)
	.set _ZL9mul_mat_fI15__hip_bfloat162Li32ELi3ELi3ELb0EEvPKT_PKfPKiPfiiiiiiiiiiiiiiii.num_named_barrier, max(0, .L_ZL14no_device_codePKciS0_iS0_.num_named_barrier)
	.set _ZL9mul_mat_fI15__hip_bfloat162Li32ELi3ELi3ELb0EEvPKT_PKfPKiPfiiiiiiiiiiiiiiii.private_seg_size, 0+max(.L_ZL14no_device_codePKciS0_iS0_.private_seg_size)
	.set _ZL9mul_mat_fI15__hip_bfloat162Li32ELi3ELi3ELb0EEvPKT_PKfPKiPfiiiiiiiiiiiiiiii.uses_vcc, or(1, .L_ZL14no_device_codePKciS0_iS0_.uses_vcc)
	.set _ZL9mul_mat_fI15__hip_bfloat162Li32ELi3ELi3ELb0EEvPKT_PKfPKiPfiiiiiiiiiiiiiiii.uses_flat_scratch, or(0, .L_ZL14no_device_codePKciS0_iS0_.uses_flat_scratch)
	.set _ZL9mul_mat_fI15__hip_bfloat162Li32ELi3ELi3ELb0EEvPKT_PKfPKiPfiiiiiiiiiiiiiiii.has_dyn_sized_stack, or(0, .L_ZL14no_device_codePKciS0_iS0_.has_dyn_sized_stack)
	.set _ZL9mul_mat_fI15__hip_bfloat162Li32ELi3ELi3ELb0EEvPKT_PKfPKiPfiiiiiiiiiiiiiiii.has_recursion, or(0, .L_ZL14no_device_codePKciS0_iS0_.has_recursion)
	.set _ZL9mul_mat_fI15__hip_bfloat162Li32ELi3ELi3ELb0EEvPKT_PKfPKiPfiiiiiiiiiiiiiiii.has_indirect_call, or(0, .L_ZL14no_device_codePKciS0_iS0_.has_indirect_call)
	.section	.AMDGPU.csdata,"",@progbits
; Kernel info:
; codeLenInByte = 84
; TotalNumSgprs: 38
; NumVgprs: 38
; ScratchSize: 16
; MemoryBound: 0
; FloatMode: 240
; IeeeMode: 1
; LDSByteSize: 0 bytes/workgroup (compile time only)
; SGPRBlocks: 4
; VGPRBlocks: 9
; NumSGPRsForWavesPerEU: 38
; NumVGPRsForWavesPerEU: 38
; Occupancy: 6
; WaveLimiterHint : 1
; COMPUTE_PGM_RSRC2:SCRATCH_EN: 1
; COMPUTE_PGM_RSRC2:USER_SGPR: 6
; COMPUTE_PGM_RSRC2:TRAP_HANDLER: 0
; COMPUTE_PGM_RSRC2:TGID_X_EN: 1
; COMPUTE_PGM_RSRC2:TGID_Y_EN: 0
; COMPUTE_PGM_RSRC2:TGID_Z_EN: 0
; COMPUTE_PGM_RSRC2:TIDIG_COMP_CNT: 0
	.section	.text._ZL13mul_mat_f_idsI15__hip_bfloat162Li32ELi3ELi4EEvPKT_PKfPKiS7_S7_Pfiiiiiiiiiiiiii15HIP_vector_typeIjLj3EESA_,"axG",@progbits,_ZL13mul_mat_f_idsI15__hip_bfloat162Li32ELi3ELi4EEvPKT_PKfPKiS7_S7_Pfiiiiiiiiiiiiii15HIP_vector_typeIjLj3EESA_,comdat
	.globl	_ZL13mul_mat_f_idsI15__hip_bfloat162Li32ELi3ELi4EEvPKT_PKfPKiS7_S7_Pfiiiiiiiiiiiiii15HIP_vector_typeIjLj3EESA_ ; -- Begin function _ZL13mul_mat_f_idsI15__hip_bfloat162Li32ELi3ELi4EEvPKT_PKfPKiS7_S7_Pfiiiiiiiiiiiiii15HIP_vector_typeIjLj3EESA_
	.p2align	8
	.type	_ZL13mul_mat_f_idsI15__hip_bfloat162Li32ELi3ELi4EEvPKT_PKfPKiS7_S7_Pfiiiiiiiiiiiiii15HIP_vector_typeIjLj3EESA_,@function
_ZL13mul_mat_f_idsI15__hip_bfloat162Li32ELi3ELi4EEvPKT_PKfPKiS7_S7_Pfiiiiiiiiiiiiii15HIP_vector_typeIjLj3EESA_: ; @_ZL13mul_mat_f_idsI15__hip_bfloat162Li32ELi3ELi4EEvPKT_PKfPKiS7_S7_Pfiiiiiiiiiiiiii15HIP_vector_typeIjLj3EESA_
; %bb.0:
	s_add_u32 s0, s0, s7
	s_addc_u32 s1, s1, 0
	s_add_u32 s8, s4, 0x80
	s_addc_u32 s9, s5, 0
	s_getpc_b64 s[4:5]
	s_add_u32 s4, s4, __FUNCTION__._ZL13mul_mat_f_idsIfLi32ELi3ELi1EEvPKT_PKfPKiS6_S6_Pfiiiiiiiiiiiiii15HIP_vector_typeIjLj3EES9_@rel32@lo+4
	s_addc_u32 s5, s5, __FUNCTION__._ZL13mul_mat_f_idsIfLi32ELi3ELi1EEvPKT_PKfPKiS6_S6_Pfiiiiiiiiiiiiii15HIP_vector_typeIjLj3EES9_@rel32@hi+12
	s_getpc_b64 s[6:7]
	s_add_u32 s6, s6, _ZL14no_device_codePKciS0_iS0_@rel32@lo+4
	s_addc_u32 s7, s7, _ZL14no_device_codePKciS0_iS0_@rel32@hi+12
	v_mov_b32_e32 v0, 0x238
	v_mov_b32_e32 v1, s4
	;; [unrolled: 1-line block ×3, first 2 shown]
	s_mov_b32 s32, 0
	s_swappc_b64 s[30:31], s[6:7]
	.section	.rodata,"a",@progbits
	.p2align	6, 0x0
	.amdhsa_kernel _ZL13mul_mat_f_idsI15__hip_bfloat162Li32ELi3ELi4EEvPKT_PKfPKiS7_S7_Pfiiiiiiiiiiiiii15HIP_vector_typeIjLj3EESA_
		.amdhsa_group_segment_fixed_size 0
		.amdhsa_private_segment_fixed_size 16
		.amdhsa_kernarg_size 384
		.amdhsa_user_sgpr_count 6
		.amdhsa_user_sgpr_private_segment_buffer 1
		.amdhsa_user_sgpr_dispatch_ptr 0
		.amdhsa_user_sgpr_queue_ptr 0
		.amdhsa_user_sgpr_kernarg_segment_ptr 1
		.amdhsa_user_sgpr_dispatch_id 0
		.amdhsa_user_sgpr_flat_scratch_init 0
		.amdhsa_user_sgpr_private_segment_size 0
		.amdhsa_uses_dynamic_stack 0
		.amdhsa_system_sgpr_private_segment_wavefront_offset 1
		.amdhsa_system_sgpr_workgroup_id_x 1
		.amdhsa_system_sgpr_workgroup_id_y 0
		.amdhsa_system_sgpr_workgroup_id_z 0
		.amdhsa_system_sgpr_workgroup_info 0
		.amdhsa_system_vgpr_workitem_id 0
		.amdhsa_next_free_vgpr 38
		.amdhsa_next_free_sgpr 34
		.amdhsa_reserve_vcc 1
		.amdhsa_reserve_flat_scratch 0
		.amdhsa_float_round_mode_32 0
		.amdhsa_float_round_mode_16_64 0
		.amdhsa_float_denorm_mode_32 3
		.amdhsa_float_denorm_mode_16_64 3
		.amdhsa_dx10_clamp 1
		.amdhsa_ieee_mode 1
		.amdhsa_fp16_overflow 0
		.amdhsa_exception_fp_ieee_invalid_op 0
		.amdhsa_exception_fp_denorm_src 0
		.amdhsa_exception_fp_ieee_div_zero 0
		.amdhsa_exception_fp_ieee_overflow 0
		.amdhsa_exception_fp_ieee_underflow 0
		.amdhsa_exception_fp_ieee_inexact 0
		.amdhsa_exception_int_div_zero 0
	.end_amdhsa_kernel
	.section	.text._ZL13mul_mat_f_idsI15__hip_bfloat162Li32ELi3ELi4EEvPKT_PKfPKiS7_S7_Pfiiiiiiiiiiiiii15HIP_vector_typeIjLj3EESA_,"axG",@progbits,_ZL13mul_mat_f_idsI15__hip_bfloat162Li32ELi3ELi4EEvPKT_PKfPKiS7_S7_Pfiiiiiiiiiiiiii15HIP_vector_typeIjLj3EESA_,comdat
.Lfunc_end60:
	.size	_ZL13mul_mat_f_idsI15__hip_bfloat162Li32ELi3ELi4EEvPKT_PKfPKiS7_S7_Pfiiiiiiiiiiiiii15HIP_vector_typeIjLj3EESA_, .Lfunc_end60-_ZL13mul_mat_f_idsI15__hip_bfloat162Li32ELi3ELi4EEvPKT_PKfPKiS7_S7_Pfiiiiiiiiiiiiii15HIP_vector_typeIjLj3EESA_
                                        ; -- End function
	.set _ZL13mul_mat_f_idsI15__hip_bfloat162Li32ELi3ELi4EEvPKT_PKfPKiS7_S7_Pfiiiiiiiiiiiiii15HIP_vector_typeIjLj3EESA_.num_vgpr, max(3, .L_ZL14no_device_codePKciS0_iS0_.num_vgpr)
	.set _ZL13mul_mat_f_idsI15__hip_bfloat162Li32ELi3ELi4EEvPKT_PKfPKiS7_S7_Pfiiiiiiiiiiiiii15HIP_vector_typeIjLj3EESA_.num_agpr, max(0, .L_ZL14no_device_codePKciS0_iS0_.num_agpr)
	.set _ZL13mul_mat_f_idsI15__hip_bfloat162Li32ELi3ELi4EEvPKT_PKfPKiS7_S7_Pfiiiiiiiiiiiiii15HIP_vector_typeIjLj3EESA_.numbered_sgpr, max(33, .L_ZL14no_device_codePKciS0_iS0_.numbered_sgpr)
	.set _ZL13mul_mat_f_idsI15__hip_bfloat162Li32ELi3ELi4EEvPKT_PKfPKiS7_S7_Pfiiiiiiiiiiiiii15HIP_vector_typeIjLj3EESA_.num_named_barrier, max(0, .L_ZL14no_device_codePKciS0_iS0_.num_named_barrier)
	.set _ZL13mul_mat_f_idsI15__hip_bfloat162Li32ELi3ELi4EEvPKT_PKfPKiS7_S7_Pfiiiiiiiiiiiiii15HIP_vector_typeIjLj3EESA_.private_seg_size, 0+max(.L_ZL14no_device_codePKciS0_iS0_.private_seg_size)
	.set _ZL13mul_mat_f_idsI15__hip_bfloat162Li32ELi3ELi4EEvPKT_PKfPKiS7_S7_Pfiiiiiiiiiiiiii15HIP_vector_typeIjLj3EESA_.uses_vcc, or(1, .L_ZL14no_device_codePKciS0_iS0_.uses_vcc)
	.set _ZL13mul_mat_f_idsI15__hip_bfloat162Li32ELi3ELi4EEvPKT_PKfPKiS7_S7_Pfiiiiiiiiiiiiii15HIP_vector_typeIjLj3EESA_.uses_flat_scratch, or(0, .L_ZL14no_device_codePKciS0_iS0_.uses_flat_scratch)
	.set _ZL13mul_mat_f_idsI15__hip_bfloat162Li32ELi3ELi4EEvPKT_PKfPKiS7_S7_Pfiiiiiiiiiiiiii15HIP_vector_typeIjLj3EESA_.has_dyn_sized_stack, or(0, .L_ZL14no_device_codePKciS0_iS0_.has_dyn_sized_stack)
	.set _ZL13mul_mat_f_idsI15__hip_bfloat162Li32ELi3ELi4EEvPKT_PKfPKiS7_S7_Pfiiiiiiiiiiiiii15HIP_vector_typeIjLj3EESA_.has_recursion, or(0, .L_ZL14no_device_codePKciS0_iS0_.has_recursion)
	.set _ZL13mul_mat_f_idsI15__hip_bfloat162Li32ELi3ELi4EEvPKT_PKfPKiS7_S7_Pfiiiiiiiiiiiiii15HIP_vector_typeIjLj3EESA_.has_indirect_call, or(0, .L_ZL14no_device_codePKciS0_iS0_.has_indirect_call)
	.section	.AMDGPU.csdata,"",@progbits
; Kernel info:
; codeLenInByte = 84
; TotalNumSgprs: 38
; NumVgprs: 38
; ScratchSize: 16
; MemoryBound: 0
; FloatMode: 240
; IeeeMode: 1
; LDSByteSize: 0 bytes/workgroup (compile time only)
; SGPRBlocks: 4
; VGPRBlocks: 9
; NumSGPRsForWavesPerEU: 38
; NumVGPRsForWavesPerEU: 38
; Occupancy: 6
; WaveLimiterHint : 1
; COMPUTE_PGM_RSRC2:SCRATCH_EN: 1
; COMPUTE_PGM_RSRC2:USER_SGPR: 6
; COMPUTE_PGM_RSRC2:TRAP_HANDLER: 0
; COMPUTE_PGM_RSRC2:TGID_X_EN: 1
; COMPUTE_PGM_RSRC2:TGID_Y_EN: 0
; COMPUTE_PGM_RSRC2:TGID_Z_EN: 0
; COMPUTE_PGM_RSRC2:TIDIG_COMP_CNT: 0
	.section	.text._ZL9mul_mat_fI15__hip_bfloat162Li32ELi3ELi4ELb1EEvPKT_PKfPKiPfiiiiiiiiiiiiiiii,"axG",@progbits,_ZL9mul_mat_fI15__hip_bfloat162Li32ELi3ELi4ELb1EEvPKT_PKfPKiPfiiiiiiiiiiiiiiii,comdat
	.globl	_ZL9mul_mat_fI15__hip_bfloat162Li32ELi3ELi4ELb1EEvPKT_PKfPKiPfiiiiiiiiiiiiiiii ; -- Begin function _ZL9mul_mat_fI15__hip_bfloat162Li32ELi3ELi4ELb1EEvPKT_PKfPKiPfiiiiiiiiiiiiiiii
	.p2align	8
	.type	_ZL9mul_mat_fI15__hip_bfloat162Li32ELi3ELi4ELb1EEvPKT_PKfPKiPfiiiiiiiiiiiiiiii,@function
_ZL9mul_mat_fI15__hip_bfloat162Li32ELi3ELi4ELb1EEvPKT_PKfPKiPfiiiiiiiiiiiiiiii: ; @_ZL9mul_mat_fI15__hip_bfloat162Li32ELi3ELi4ELb1EEvPKT_PKfPKiPfiiiiiiiiiiiiiiii
; %bb.0:
	s_add_u32 s0, s0, s7
	s_addc_u32 s1, s1, 0
	s_add_u32 s8, s4, 0x60
	s_addc_u32 s9, s5, 0
	s_getpc_b64 s[4:5]
	s_add_u32 s4, s4, __FUNCTION__._ZL9mul_mat_fIfLi32ELi3ELi1ELb1EEvPKT_PKfPKiPfiiiiiiiiiiiiiiii@rel32@lo+4
	s_addc_u32 s5, s5, __FUNCTION__._ZL9mul_mat_fIfLi32ELi3ELi1ELb1EEvPKT_PKfPKiPfiiiiiiiiiiiiiiii@rel32@hi+12
	s_getpc_b64 s[6:7]
	s_add_u32 s6, s6, _ZL14no_device_codePKciS0_iS0_@rel32@lo+4
	s_addc_u32 s7, s7, _ZL14no_device_codePKciS0_iS0_@rel32@hi+12
	v_mov_b32_e32 v0, 0x124
	v_mov_b32_e32 v1, s4
	;; [unrolled: 1-line block ×3, first 2 shown]
	s_mov_b32 s32, 0
	s_swappc_b64 s[30:31], s[6:7]
	.section	.rodata,"a",@progbits
	.p2align	6, 0x0
	.amdhsa_kernel _ZL9mul_mat_fI15__hip_bfloat162Li32ELi3ELi4ELb1EEvPKT_PKfPKiPfiiiiiiiiiiiiiiii
		.amdhsa_group_segment_fixed_size 0
		.amdhsa_private_segment_fixed_size 16
		.amdhsa_kernarg_size 352
		.amdhsa_user_sgpr_count 6
		.amdhsa_user_sgpr_private_segment_buffer 1
		.amdhsa_user_sgpr_dispatch_ptr 0
		.amdhsa_user_sgpr_queue_ptr 0
		.amdhsa_user_sgpr_kernarg_segment_ptr 1
		.amdhsa_user_sgpr_dispatch_id 0
		.amdhsa_user_sgpr_flat_scratch_init 0
		.amdhsa_user_sgpr_private_segment_size 0
		.amdhsa_uses_dynamic_stack 0
		.amdhsa_system_sgpr_private_segment_wavefront_offset 1
		.amdhsa_system_sgpr_workgroup_id_x 1
		.amdhsa_system_sgpr_workgroup_id_y 0
		.amdhsa_system_sgpr_workgroup_id_z 0
		.amdhsa_system_sgpr_workgroup_info 0
		.amdhsa_system_vgpr_workitem_id 0
		.amdhsa_next_free_vgpr 38
		.amdhsa_next_free_sgpr 34
		.amdhsa_reserve_vcc 1
		.amdhsa_reserve_flat_scratch 0
		.amdhsa_float_round_mode_32 0
		.amdhsa_float_round_mode_16_64 0
		.amdhsa_float_denorm_mode_32 3
		.amdhsa_float_denorm_mode_16_64 3
		.amdhsa_dx10_clamp 1
		.amdhsa_ieee_mode 1
		.amdhsa_fp16_overflow 0
		.amdhsa_exception_fp_ieee_invalid_op 0
		.amdhsa_exception_fp_denorm_src 0
		.amdhsa_exception_fp_ieee_div_zero 0
		.amdhsa_exception_fp_ieee_overflow 0
		.amdhsa_exception_fp_ieee_underflow 0
		.amdhsa_exception_fp_ieee_inexact 0
		.amdhsa_exception_int_div_zero 0
	.end_amdhsa_kernel
	.section	.text._ZL9mul_mat_fI15__hip_bfloat162Li32ELi3ELi4ELb1EEvPKT_PKfPKiPfiiiiiiiiiiiiiiii,"axG",@progbits,_ZL9mul_mat_fI15__hip_bfloat162Li32ELi3ELi4ELb1EEvPKT_PKfPKiPfiiiiiiiiiiiiiiii,comdat
.Lfunc_end61:
	.size	_ZL9mul_mat_fI15__hip_bfloat162Li32ELi3ELi4ELb1EEvPKT_PKfPKiPfiiiiiiiiiiiiiiii, .Lfunc_end61-_ZL9mul_mat_fI15__hip_bfloat162Li32ELi3ELi4ELb1EEvPKT_PKfPKiPfiiiiiiiiiiiiiiii
                                        ; -- End function
	.set _ZL9mul_mat_fI15__hip_bfloat162Li32ELi3ELi4ELb1EEvPKT_PKfPKiPfiiiiiiiiiiiiiiii.num_vgpr, max(3, .L_ZL14no_device_codePKciS0_iS0_.num_vgpr)
	.set _ZL9mul_mat_fI15__hip_bfloat162Li32ELi3ELi4ELb1EEvPKT_PKfPKiPfiiiiiiiiiiiiiiii.num_agpr, max(0, .L_ZL14no_device_codePKciS0_iS0_.num_agpr)
	.set _ZL9mul_mat_fI15__hip_bfloat162Li32ELi3ELi4ELb1EEvPKT_PKfPKiPfiiiiiiiiiiiiiiii.numbered_sgpr, max(33, .L_ZL14no_device_codePKciS0_iS0_.numbered_sgpr)
	.set _ZL9mul_mat_fI15__hip_bfloat162Li32ELi3ELi4ELb1EEvPKT_PKfPKiPfiiiiiiiiiiiiiiii.num_named_barrier, max(0, .L_ZL14no_device_codePKciS0_iS0_.num_named_barrier)
	.set _ZL9mul_mat_fI15__hip_bfloat162Li32ELi3ELi4ELb1EEvPKT_PKfPKiPfiiiiiiiiiiiiiiii.private_seg_size, 0+max(.L_ZL14no_device_codePKciS0_iS0_.private_seg_size)
	.set _ZL9mul_mat_fI15__hip_bfloat162Li32ELi3ELi4ELb1EEvPKT_PKfPKiPfiiiiiiiiiiiiiiii.uses_vcc, or(1, .L_ZL14no_device_codePKciS0_iS0_.uses_vcc)
	.set _ZL9mul_mat_fI15__hip_bfloat162Li32ELi3ELi4ELb1EEvPKT_PKfPKiPfiiiiiiiiiiiiiiii.uses_flat_scratch, or(0, .L_ZL14no_device_codePKciS0_iS0_.uses_flat_scratch)
	.set _ZL9mul_mat_fI15__hip_bfloat162Li32ELi3ELi4ELb1EEvPKT_PKfPKiPfiiiiiiiiiiiiiiii.has_dyn_sized_stack, or(0, .L_ZL14no_device_codePKciS0_iS0_.has_dyn_sized_stack)
	.set _ZL9mul_mat_fI15__hip_bfloat162Li32ELi3ELi4ELb1EEvPKT_PKfPKiPfiiiiiiiiiiiiiiii.has_recursion, or(0, .L_ZL14no_device_codePKciS0_iS0_.has_recursion)
	.set _ZL9mul_mat_fI15__hip_bfloat162Li32ELi3ELi4ELb1EEvPKT_PKfPKiPfiiiiiiiiiiiiiiii.has_indirect_call, or(0, .L_ZL14no_device_codePKciS0_iS0_.has_indirect_call)
	.section	.AMDGPU.csdata,"",@progbits
; Kernel info:
; codeLenInByte = 84
; TotalNumSgprs: 38
; NumVgprs: 38
; ScratchSize: 16
; MemoryBound: 0
; FloatMode: 240
; IeeeMode: 1
; LDSByteSize: 0 bytes/workgroup (compile time only)
; SGPRBlocks: 4
; VGPRBlocks: 9
; NumSGPRsForWavesPerEU: 38
; NumVGPRsForWavesPerEU: 38
; Occupancy: 6
; WaveLimiterHint : 1
; COMPUTE_PGM_RSRC2:SCRATCH_EN: 1
; COMPUTE_PGM_RSRC2:USER_SGPR: 6
; COMPUTE_PGM_RSRC2:TRAP_HANDLER: 0
; COMPUTE_PGM_RSRC2:TGID_X_EN: 1
; COMPUTE_PGM_RSRC2:TGID_Y_EN: 0
; COMPUTE_PGM_RSRC2:TGID_Z_EN: 0
; COMPUTE_PGM_RSRC2:TIDIG_COMP_CNT: 0
	.section	.text._ZL9mul_mat_fI15__hip_bfloat162Li32ELi3ELi4ELb0EEvPKT_PKfPKiPfiiiiiiiiiiiiiiii,"axG",@progbits,_ZL9mul_mat_fI15__hip_bfloat162Li32ELi3ELi4ELb0EEvPKT_PKfPKiPfiiiiiiiiiiiiiiii,comdat
	.globl	_ZL9mul_mat_fI15__hip_bfloat162Li32ELi3ELi4ELb0EEvPKT_PKfPKiPfiiiiiiiiiiiiiiii ; -- Begin function _ZL9mul_mat_fI15__hip_bfloat162Li32ELi3ELi4ELb0EEvPKT_PKfPKiPfiiiiiiiiiiiiiiii
	.p2align	8
	.type	_ZL9mul_mat_fI15__hip_bfloat162Li32ELi3ELi4ELb0EEvPKT_PKfPKiPfiiiiiiiiiiiiiiii,@function
_ZL9mul_mat_fI15__hip_bfloat162Li32ELi3ELi4ELb0EEvPKT_PKfPKiPfiiiiiiiiiiiiiiii: ; @_ZL9mul_mat_fI15__hip_bfloat162Li32ELi3ELi4ELb0EEvPKT_PKfPKiPfiiiiiiiiiiiiiiii
; %bb.0:
	s_add_u32 s0, s0, s7
	s_addc_u32 s1, s1, 0
	s_add_u32 s8, s4, 0x60
	s_addc_u32 s9, s5, 0
	s_getpc_b64 s[4:5]
	s_add_u32 s4, s4, __FUNCTION__._ZL9mul_mat_fIfLi32ELi3ELi1ELb1EEvPKT_PKfPKiPfiiiiiiiiiiiiiiii@rel32@lo+4
	s_addc_u32 s5, s5, __FUNCTION__._ZL9mul_mat_fIfLi32ELi3ELi1ELb1EEvPKT_PKfPKiPfiiiiiiiiiiiiiiii@rel32@hi+12
	s_getpc_b64 s[6:7]
	s_add_u32 s6, s6, _ZL14no_device_codePKciS0_iS0_@rel32@lo+4
	s_addc_u32 s7, s7, _ZL14no_device_codePKciS0_iS0_@rel32@hi+12
	v_mov_b32_e32 v0, 0x124
	v_mov_b32_e32 v1, s4
	;; [unrolled: 1-line block ×3, first 2 shown]
	s_mov_b32 s32, 0
	s_swappc_b64 s[30:31], s[6:7]
	.section	.rodata,"a",@progbits
	.p2align	6, 0x0
	.amdhsa_kernel _ZL9mul_mat_fI15__hip_bfloat162Li32ELi3ELi4ELb0EEvPKT_PKfPKiPfiiiiiiiiiiiiiiii
		.amdhsa_group_segment_fixed_size 0
		.amdhsa_private_segment_fixed_size 16
		.amdhsa_kernarg_size 352
		.amdhsa_user_sgpr_count 6
		.amdhsa_user_sgpr_private_segment_buffer 1
		.amdhsa_user_sgpr_dispatch_ptr 0
		.amdhsa_user_sgpr_queue_ptr 0
		.amdhsa_user_sgpr_kernarg_segment_ptr 1
		.amdhsa_user_sgpr_dispatch_id 0
		.amdhsa_user_sgpr_flat_scratch_init 0
		.amdhsa_user_sgpr_private_segment_size 0
		.amdhsa_uses_dynamic_stack 0
		.amdhsa_system_sgpr_private_segment_wavefront_offset 1
		.amdhsa_system_sgpr_workgroup_id_x 1
		.amdhsa_system_sgpr_workgroup_id_y 0
		.amdhsa_system_sgpr_workgroup_id_z 0
		.amdhsa_system_sgpr_workgroup_info 0
		.amdhsa_system_vgpr_workitem_id 0
		.amdhsa_next_free_vgpr 38
		.amdhsa_next_free_sgpr 34
		.amdhsa_reserve_vcc 1
		.amdhsa_reserve_flat_scratch 0
		.amdhsa_float_round_mode_32 0
		.amdhsa_float_round_mode_16_64 0
		.amdhsa_float_denorm_mode_32 3
		.amdhsa_float_denorm_mode_16_64 3
		.amdhsa_dx10_clamp 1
		.amdhsa_ieee_mode 1
		.amdhsa_fp16_overflow 0
		.amdhsa_exception_fp_ieee_invalid_op 0
		.amdhsa_exception_fp_denorm_src 0
		.amdhsa_exception_fp_ieee_div_zero 0
		.amdhsa_exception_fp_ieee_overflow 0
		.amdhsa_exception_fp_ieee_underflow 0
		.amdhsa_exception_fp_ieee_inexact 0
		.amdhsa_exception_int_div_zero 0
	.end_amdhsa_kernel
	.section	.text._ZL9mul_mat_fI15__hip_bfloat162Li32ELi3ELi4ELb0EEvPKT_PKfPKiPfiiiiiiiiiiiiiiii,"axG",@progbits,_ZL9mul_mat_fI15__hip_bfloat162Li32ELi3ELi4ELb0EEvPKT_PKfPKiPfiiiiiiiiiiiiiiii,comdat
.Lfunc_end62:
	.size	_ZL9mul_mat_fI15__hip_bfloat162Li32ELi3ELi4ELb0EEvPKT_PKfPKiPfiiiiiiiiiiiiiiii, .Lfunc_end62-_ZL9mul_mat_fI15__hip_bfloat162Li32ELi3ELi4ELb0EEvPKT_PKfPKiPfiiiiiiiiiiiiiiii
                                        ; -- End function
	.set _ZL9mul_mat_fI15__hip_bfloat162Li32ELi3ELi4ELb0EEvPKT_PKfPKiPfiiiiiiiiiiiiiiii.num_vgpr, max(3, .L_ZL14no_device_codePKciS0_iS0_.num_vgpr)
	.set _ZL9mul_mat_fI15__hip_bfloat162Li32ELi3ELi4ELb0EEvPKT_PKfPKiPfiiiiiiiiiiiiiiii.num_agpr, max(0, .L_ZL14no_device_codePKciS0_iS0_.num_agpr)
	.set _ZL9mul_mat_fI15__hip_bfloat162Li32ELi3ELi4ELb0EEvPKT_PKfPKiPfiiiiiiiiiiiiiiii.numbered_sgpr, max(33, .L_ZL14no_device_codePKciS0_iS0_.numbered_sgpr)
	.set _ZL9mul_mat_fI15__hip_bfloat162Li32ELi3ELi4ELb0EEvPKT_PKfPKiPfiiiiiiiiiiiiiiii.num_named_barrier, max(0, .L_ZL14no_device_codePKciS0_iS0_.num_named_barrier)
	.set _ZL9mul_mat_fI15__hip_bfloat162Li32ELi3ELi4ELb0EEvPKT_PKfPKiPfiiiiiiiiiiiiiiii.private_seg_size, 0+max(.L_ZL14no_device_codePKciS0_iS0_.private_seg_size)
	.set _ZL9mul_mat_fI15__hip_bfloat162Li32ELi3ELi4ELb0EEvPKT_PKfPKiPfiiiiiiiiiiiiiiii.uses_vcc, or(1, .L_ZL14no_device_codePKciS0_iS0_.uses_vcc)
	.set _ZL9mul_mat_fI15__hip_bfloat162Li32ELi3ELi4ELb0EEvPKT_PKfPKiPfiiiiiiiiiiiiiiii.uses_flat_scratch, or(0, .L_ZL14no_device_codePKciS0_iS0_.uses_flat_scratch)
	.set _ZL9mul_mat_fI15__hip_bfloat162Li32ELi3ELi4ELb0EEvPKT_PKfPKiPfiiiiiiiiiiiiiiii.has_dyn_sized_stack, or(0, .L_ZL14no_device_codePKciS0_iS0_.has_dyn_sized_stack)
	.set _ZL9mul_mat_fI15__hip_bfloat162Li32ELi3ELi4ELb0EEvPKT_PKfPKiPfiiiiiiiiiiiiiiii.has_recursion, or(0, .L_ZL14no_device_codePKciS0_iS0_.has_recursion)
	.set _ZL9mul_mat_fI15__hip_bfloat162Li32ELi3ELi4ELb0EEvPKT_PKfPKiPfiiiiiiiiiiiiiiii.has_indirect_call, or(0, .L_ZL14no_device_codePKciS0_iS0_.has_indirect_call)
	.section	.AMDGPU.csdata,"",@progbits
; Kernel info:
; codeLenInByte = 84
; TotalNumSgprs: 38
; NumVgprs: 38
; ScratchSize: 16
; MemoryBound: 0
; FloatMode: 240
; IeeeMode: 1
; LDSByteSize: 0 bytes/workgroup (compile time only)
; SGPRBlocks: 4
; VGPRBlocks: 9
; NumSGPRsForWavesPerEU: 38
; NumVGPRsForWavesPerEU: 38
; Occupancy: 6
; WaveLimiterHint : 1
; COMPUTE_PGM_RSRC2:SCRATCH_EN: 1
; COMPUTE_PGM_RSRC2:USER_SGPR: 6
; COMPUTE_PGM_RSRC2:TRAP_HANDLER: 0
; COMPUTE_PGM_RSRC2:TGID_X_EN: 1
; COMPUTE_PGM_RSRC2:TGID_Y_EN: 0
; COMPUTE_PGM_RSRC2:TGID_Z_EN: 0
; COMPUTE_PGM_RSRC2:TIDIG_COMP_CNT: 0
	.section	.text._ZL13mul_mat_f_idsI15__hip_bfloat162Li32ELi3ELi5EEvPKT_PKfPKiS7_S7_Pfiiiiiiiiiiiiii15HIP_vector_typeIjLj3EESA_,"axG",@progbits,_ZL13mul_mat_f_idsI15__hip_bfloat162Li32ELi3ELi5EEvPKT_PKfPKiS7_S7_Pfiiiiiiiiiiiiii15HIP_vector_typeIjLj3EESA_,comdat
	.globl	_ZL13mul_mat_f_idsI15__hip_bfloat162Li32ELi3ELi5EEvPKT_PKfPKiS7_S7_Pfiiiiiiiiiiiiii15HIP_vector_typeIjLj3EESA_ ; -- Begin function _ZL13mul_mat_f_idsI15__hip_bfloat162Li32ELi3ELi5EEvPKT_PKfPKiS7_S7_Pfiiiiiiiiiiiiii15HIP_vector_typeIjLj3EESA_
	.p2align	8
	.type	_ZL13mul_mat_f_idsI15__hip_bfloat162Li32ELi3ELi5EEvPKT_PKfPKiS7_S7_Pfiiiiiiiiiiiiii15HIP_vector_typeIjLj3EESA_,@function
_ZL13mul_mat_f_idsI15__hip_bfloat162Li32ELi3ELi5EEvPKT_PKfPKiS7_S7_Pfiiiiiiiiiiiiii15HIP_vector_typeIjLj3EESA_: ; @_ZL13mul_mat_f_idsI15__hip_bfloat162Li32ELi3ELi5EEvPKT_PKfPKiS7_S7_Pfiiiiiiiiiiiiii15HIP_vector_typeIjLj3EESA_
; %bb.0:
	s_add_u32 s0, s0, s7
	s_addc_u32 s1, s1, 0
	s_add_u32 s8, s4, 0x80
	s_addc_u32 s9, s5, 0
	s_getpc_b64 s[4:5]
	s_add_u32 s4, s4, __FUNCTION__._ZL13mul_mat_f_idsIfLi32ELi3ELi1EEvPKT_PKfPKiS6_S6_Pfiiiiiiiiiiiiii15HIP_vector_typeIjLj3EES9_@rel32@lo+4
	s_addc_u32 s5, s5, __FUNCTION__._ZL13mul_mat_f_idsIfLi32ELi3ELi1EEvPKT_PKfPKiS6_S6_Pfiiiiiiiiiiiiii15HIP_vector_typeIjLj3EES9_@rel32@hi+12
	s_getpc_b64 s[6:7]
	s_add_u32 s6, s6, _ZL14no_device_codePKciS0_iS0_@rel32@lo+4
	s_addc_u32 s7, s7, _ZL14no_device_codePKciS0_iS0_@rel32@hi+12
	v_mov_b32_e32 v0, 0x238
	v_mov_b32_e32 v1, s4
	;; [unrolled: 1-line block ×3, first 2 shown]
	s_mov_b32 s32, 0
	s_swappc_b64 s[30:31], s[6:7]
	.section	.rodata,"a",@progbits
	.p2align	6, 0x0
	.amdhsa_kernel _ZL13mul_mat_f_idsI15__hip_bfloat162Li32ELi3ELi5EEvPKT_PKfPKiS7_S7_Pfiiiiiiiiiiiiii15HIP_vector_typeIjLj3EESA_
		.amdhsa_group_segment_fixed_size 0
		.amdhsa_private_segment_fixed_size 16
		.amdhsa_kernarg_size 384
		.amdhsa_user_sgpr_count 6
		.amdhsa_user_sgpr_private_segment_buffer 1
		.amdhsa_user_sgpr_dispatch_ptr 0
		.amdhsa_user_sgpr_queue_ptr 0
		.amdhsa_user_sgpr_kernarg_segment_ptr 1
		.amdhsa_user_sgpr_dispatch_id 0
		.amdhsa_user_sgpr_flat_scratch_init 0
		.amdhsa_user_sgpr_private_segment_size 0
		.amdhsa_uses_dynamic_stack 0
		.amdhsa_system_sgpr_private_segment_wavefront_offset 1
		.amdhsa_system_sgpr_workgroup_id_x 1
		.amdhsa_system_sgpr_workgroup_id_y 0
		.amdhsa_system_sgpr_workgroup_id_z 0
		.amdhsa_system_sgpr_workgroup_info 0
		.amdhsa_system_vgpr_workitem_id 0
		.amdhsa_next_free_vgpr 38
		.amdhsa_next_free_sgpr 34
		.amdhsa_reserve_vcc 1
		.amdhsa_reserve_flat_scratch 0
		.amdhsa_float_round_mode_32 0
		.amdhsa_float_round_mode_16_64 0
		.amdhsa_float_denorm_mode_32 3
		.amdhsa_float_denorm_mode_16_64 3
		.amdhsa_dx10_clamp 1
		.amdhsa_ieee_mode 1
		.amdhsa_fp16_overflow 0
		.amdhsa_exception_fp_ieee_invalid_op 0
		.amdhsa_exception_fp_denorm_src 0
		.amdhsa_exception_fp_ieee_div_zero 0
		.amdhsa_exception_fp_ieee_overflow 0
		.amdhsa_exception_fp_ieee_underflow 0
		.amdhsa_exception_fp_ieee_inexact 0
		.amdhsa_exception_int_div_zero 0
	.end_amdhsa_kernel
	.section	.text._ZL13mul_mat_f_idsI15__hip_bfloat162Li32ELi3ELi5EEvPKT_PKfPKiS7_S7_Pfiiiiiiiiiiiiii15HIP_vector_typeIjLj3EESA_,"axG",@progbits,_ZL13mul_mat_f_idsI15__hip_bfloat162Li32ELi3ELi5EEvPKT_PKfPKiS7_S7_Pfiiiiiiiiiiiiii15HIP_vector_typeIjLj3EESA_,comdat
.Lfunc_end63:
	.size	_ZL13mul_mat_f_idsI15__hip_bfloat162Li32ELi3ELi5EEvPKT_PKfPKiS7_S7_Pfiiiiiiiiiiiiii15HIP_vector_typeIjLj3EESA_, .Lfunc_end63-_ZL13mul_mat_f_idsI15__hip_bfloat162Li32ELi3ELi5EEvPKT_PKfPKiS7_S7_Pfiiiiiiiiiiiiii15HIP_vector_typeIjLj3EESA_
                                        ; -- End function
	.set _ZL13mul_mat_f_idsI15__hip_bfloat162Li32ELi3ELi5EEvPKT_PKfPKiS7_S7_Pfiiiiiiiiiiiiii15HIP_vector_typeIjLj3EESA_.num_vgpr, max(3, .L_ZL14no_device_codePKciS0_iS0_.num_vgpr)
	.set _ZL13mul_mat_f_idsI15__hip_bfloat162Li32ELi3ELi5EEvPKT_PKfPKiS7_S7_Pfiiiiiiiiiiiiii15HIP_vector_typeIjLj3EESA_.num_agpr, max(0, .L_ZL14no_device_codePKciS0_iS0_.num_agpr)
	.set _ZL13mul_mat_f_idsI15__hip_bfloat162Li32ELi3ELi5EEvPKT_PKfPKiS7_S7_Pfiiiiiiiiiiiiii15HIP_vector_typeIjLj3EESA_.numbered_sgpr, max(33, .L_ZL14no_device_codePKciS0_iS0_.numbered_sgpr)
	.set _ZL13mul_mat_f_idsI15__hip_bfloat162Li32ELi3ELi5EEvPKT_PKfPKiS7_S7_Pfiiiiiiiiiiiiii15HIP_vector_typeIjLj3EESA_.num_named_barrier, max(0, .L_ZL14no_device_codePKciS0_iS0_.num_named_barrier)
	.set _ZL13mul_mat_f_idsI15__hip_bfloat162Li32ELi3ELi5EEvPKT_PKfPKiS7_S7_Pfiiiiiiiiiiiiii15HIP_vector_typeIjLj3EESA_.private_seg_size, 0+max(.L_ZL14no_device_codePKciS0_iS0_.private_seg_size)
	.set _ZL13mul_mat_f_idsI15__hip_bfloat162Li32ELi3ELi5EEvPKT_PKfPKiS7_S7_Pfiiiiiiiiiiiiii15HIP_vector_typeIjLj3EESA_.uses_vcc, or(1, .L_ZL14no_device_codePKciS0_iS0_.uses_vcc)
	.set _ZL13mul_mat_f_idsI15__hip_bfloat162Li32ELi3ELi5EEvPKT_PKfPKiS7_S7_Pfiiiiiiiiiiiiii15HIP_vector_typeIjLj3EESA_.uses_flat_scratch, or(0, .L_ZL14no_device_codePKciS0_iS0_.uses_flat_scratch)
	.set _ZL13mul_mat_f_idsI15__hip_bfloat162Li32ELi3ELi5EEvPKT_PKfPKiS7_S7_Pfiiiiiiiiiiiiii15HIP_vector_typeIjLj3EESA_.has_dyn_sized_stack, or(0, .L_ZL14no_device_codePKciS0_iS0_.has_dyn_sized_stack)
	.set _ZL13mul_mat_f_idsI15__hip_bfloat162Li32ELi3ELi5EEvPKT_PKfPKiS7_S7_Pfiiiiiiiiiiiiii15HIP_vector_typeIjLj3EESA_.has_recursion, or(0, .L_ZL14no_device_codePKciS0_iS0_.has_recursion)
	.set _ZL13mul_mat_f_idsI15__hip_bfloat162Li32ELi3ELi5EEvPKT_PKfPKiS7_S7_Pfiiiiiiiiiiiiii15HIP_vector_typeIjLj3EESA_.has_indirect_call, or(0, .L_ZL14no_device_codePKciS0_iS0_.has_indirect_call)
	.section	.AMDGPU.csdata,"",@progbits
; Kernel info:
; codeLenInByte = 84
; TotalNumSgprs: 38
; NumVgprs: 38
; ScratchSize: 16
; MemoryBound: 0
; FloatMode: 240
; IeeeMode: 1
; LDSByteSize: 0 bytes/workgroup (compile time only)
; SGPRBlocks: 4
; VGPRBlocks: 9
; NumSGPRsForWavesPerEU: 38
; NumVGPRsForWavesPerEU: 38
; Occupancy: 6
; WaveLimiterHint : 1
; COMPUTE_PGM_RSRC2:SCRATCH_EN: 1
; COMPUTE_PGM_RSRC2:USER_SGPR: 6
; COMPUTE_PGM_RSRC2:TRAP_HANDLER: 0
; COMPUTE_PGM_RSRC2:TGID_X_EN: 1
; COMPUTE_PGM_RSRC2:TGID_Y_EN: 0
; COMPUTE_PGM_RSRC2:TGID_Z_EN: 0
; COMPUTE_PGM_RSRC2:TIDIG_COMP_CNT: 0
	.section	.text._ZL9mul_mat_fI15__hip_bfloat162Li32ELi3ELi5ELb1EEvPKT_PKfPKiPfiiiiiiiiiiiiiiii,"axG",@progbits,_ZL9mul_mat_fI15__hip_bfloat162Li32ELi3ELi5ELb1EEvPKT_PKfPKiPfiiiiiiiiiiiiiiii,comdat
	.globl	_ZL9mul_mat_fI15__hip_bfloat162Li32ELi3ELi5ELb1EEvPKT_PKfPKiPfiiiiiiiiiiiiiiii ; -- Begin function _ZL9mul_mat_fI15__hip_bfloat162Li32ELi3ELi5ELb1EEvPKT_PKfPKiPfiiiiiiiiiiiiiiii
	.p2align	8
	.type	_ZL9mul_mat_fI15__hip_bfloat162Li32ELi3ELi5ELb1EEvPKT_PKfPKiPfiiiiiiiiiiiiiiii,@function
_ZL9mul_mat_fI15__hip_bfloat162Li32ELi3ELi5ELb1EEvPKT_PKfPKiPfiiiiiiiiiiiiiiii: ; @_ZL9mul_mat_fI15__hip_bfloat162Li32ELi3ELi5ELb1EEvPKT_PKfPKiPfiiiiiiiiiiiiiiii
; %bb.0:
	s_add_u32 s0, s0, s7
	s_addc_u32 s1, s1, 0
	s_add_u32 s8, s4, 0x60
	s_addc_u32 s9, s5, 0
	s_getpc_b64 s[4:5]
	s_add_u32 s4, s4, __FUNCTION__._ZL9mul_mat_fIfLi32ELi3ELi1ELb1EEvPKT_PKfPKiPfiiiiiiiiiiiiiiii@rel32@lo+4
	s_addc_u32 s5, s5, __FUNCTION__._ZL9mul_mat_fIfLi32ELi3ELi1ELb1EEvPKT_PKfPKiPfiiiiiiiiiiiiiiii@rel32@hi+12
	s_getpc_b64 s[6:7]
	s_add_u32 s6, s6, _ZL14no_device_codePKciS0_iS0_@rel32@lo+4
	s_addc_u32 s7, s7, _ZL14no_device_codePKciS0_iS0_@rel32@hi+12
	v_mov_b32_e32 v0, 0x124
	v_mov_b32_e32 v1, s4
	;; [unrolled: 1-line block ×3, first 2 shown]
	s_mov_b32 s32, 0
	s_swappc_b64 s[30:31], s[6:7]
	.section	.rodata,"a",@progbits
	.p2align	6, 0x0
	.amdhsa_kernel _ZL9mul_mat_fI15__hip_bfloat162Li32ELi3ELi5ELb1EEvPKT_PKfPKiPfiiiiiiiiiiiiiiii
		.amdhsa_group_segment_fixed_size 0
		.amdhsa_private_segment_fixed_size 16
		.amdhsa_kernarg_size 352
		.amdhsa_user_sgpr_count 6
		.amdhsa_user_sgpr_private_segment_buffer 1
		.amdhsa_user_sgpr_dispatch_ptr 0
		.amdhsa_user_sgpr_queue_ptr 0
		.amdhsa_user_sgpr_kernarg_segment_ptr 1
		.amdhsa_user_sgpr_dispatch_id 0
		.amdhsa_user_sgpr_flat_scratch_init 0
		.amdhsa_user_sgpr_private_segment_size 0
		.amdhsa_uses_dynamic_stack 0
		.amdhsa_system_sgpr_private_segment_wavefront_offset 1
		.amdhsa_system_sgpr_workgroup_id_x 1
		.amdhsa_system_sgpr_workgroup_id_y 0
		.amdhsa_system_sgpr_workgroup_id_z 0
		.amdhsa_system_sgpr_workgroup_info 0
		.amdhsa_system_vgpr_workitem_id 0
		.amdhsa_next_free_vgpr 38
		.amdhsa_next_free_sgpr 34
		.amdhsa_reserve_vcc 1
		.amdhsa_reserve_flat_scratch 0
		.amdhsa_float_round_mode_32 0
		.amdhsa_float_round_mode_16_64 0
		.amdhsa_float_denorm_mode_32 3
		.amdhsa_float_denorm_mode_16_64 3
		.amdhsa_dx10_clamp 1
		.amdhsa_ieee_mode 1
		.amdhsa_fp16_overflow 0
		.amdhsa_exception_fp_ieee_invalid_op 0
		.amdhsa_exception_fp_denorm_src 0
		.amdhsa_exception_fp_ieee_div_zero 0
		.amdhsa_exception_fp_ieee_overflow 0
		.amdhsa_exception_fp_ieee_underflow 0
		.amdhsa_exception_fp_ieee_inexact 0
		.amdhsa_exception_int_div_zero 0
	.end_amdhsa_kernel
	.section	.text._ZL9mul_mat_fI15__hip_bfloat162Li32ELi3ELi5ELb1EEvPKT_PKfPKiPfiiiiiiiiiiiiiiii,"axG",@progbits,_ZL9mul_mat_fI15__hip_bfloat162Li32ELi3ELi5ELb1EEvPKT_PKfPKiPfiiiiiiiiiiiiiiii,comdat
.Lfunc_end64:
	.size	_ZL9mul_mat_fI15__hip_bfloat162Li32ELi3ELi5ELb1EEvPKT_PKfPKiPfiiiiiiiiiiiiiiii, .Lfunc_end64-_ZL9mul_mat_fI15__hip_bfloat162Li32ELi3ELi5ELb1EEvPKT_PKfPKiPfiiiiiiiiiiiiiiii
                                        ; -- End function
	.set _ZL9mul_mat_fI15__hip_bfloat162Li32ELi3ELi5ELb1EEvPKT_PKfPKiPfiiiiiiiiiiiiiiii.num_vgpr, max(3, .L_ZL14no_device_codePKciS0_iS0_.num_vgpr)
	.set _ZL9mul_mat_fI15__hip_bfloat162Li32ELi3ELi5ELb1EEvPKT_PKfPKiPfiiiiiiiiiiiiiiii.num_agpr, max(0, .L_ZL14no_device_codePKciS0_iS0_.num_agpr)
	.set _ZL9mul_mat_fI15__hip_bfloat162Li32ELi3ELi5ELb1EEvPKT_PKfPKiPfiiiiiiiiiiiiiiii.numbered_sgpr, max(33, .L_ZL14no_device_codePKciS0_iS0_.numbered_sgpr)
	.set _ZL9mul_mat_fI15__hip_bfloat162Li32ELi3ELi5ELb1EEvPKT_PKfPKiPfiiiiiiiiiiiiiiii.num_named_barrier, max(0, .L_ZL14no_device_codePKciS0_iS0_.num_named_barrier)
	.set _ZL9mul_mat_fI15__hip_bfloat162Li32ELi3ELi5ELb1EEvPKT_PKfPKiPfiiiiiiiiiiiiiiii.private_seg_size, 0+max(.L_ZL14no_device_codePKciS0_iS0_.private_seg_size)
	.set _ZL9mul_mat_fI15__hip_bfloat162Li32ELi3ELi5ELb1EEvPKT_PKfPKiPfiiiiiiiiiiiiiiii.uses_vcc, or(1, .L_ZL14no_device_codePKciS0_iS0_.uses_vcc)
	.set _ZL9mul_mat_fI15__hip_bfloat162Li32ELi3ELi5ELb1EEvPKT_PKfPKiPfiiiiiiiiiiiiiiii.uses_flat_scratch, or(0, .L_ZL14no_device_codePKciS0_iS0_.uses_flat_scratch)
	.set _ZL9mul_mat_fI15__hip_bfloat162Li32ELi3ELi5ELb1EEvPKT_PKfPKiPfiiiiiiiiiiiiiiii.has_dyn_sized_stack, or(0, .L_ZL14no_device_codePKciS0_iS0_.has_dyn_sized_stack)
	.set _ZL9mul_mat_fI15__hip_bfloat162Li32ELi3ELi5ELb1EEvPKT_PKfPKiPfiiiiiiiiiiiiiiii.has_recursion, or(0, .L_ZL14no_device_codePKciS0_iS0_.has_recursion)
	.set _ZL9mul_mat_fI15__hip_bfloat162Li32ELi3ELi5ELb1EEvPKT_PKfPKiPfiiiiiiiiiiiiiiii.has_indirect_call, or(0, .L_ZL14no_device_codePKciS0_iS0_.has_indirect_call)
	.section	.AMDGPU.csdata,"",@progbits
; Kernel info:
; codeLenInByte = 84
; TotalNumSgprs: 38
; NumVgprs: 38
; ScratchSize: 16
; MemoryBound: 0
; FloatMode: 240
; IeeeMode: 1
; LDSByteSize: 0 bytes/workgroup (compile time only)
; SGPRBlocks: 4
; VGPRBlocks: 9
; NumSGPRsForWavesPerEU: 38
; NumVGPRsForWavesPerEU: 38
; Occupancy: 6
; WaveLimiterHint : 1
; COMPUTE_PGM_RSRC2:SCRATCH_EN: 1
; COMPUTE_PGM_RSRC2:USER_SGPR: 6
; COMPUTE_PGM_RSRC2:TRAP_HANDLER: 0
; COMPUTE_PGM_RSRC2:TGID_X_EN: 1
; COMPUTE_PGM_RSRC2:TGID_Y_EN: 0
; COMPUTE_PGM_RSRC2:TGID_Z_EN: 0
; COMPUTE_PGM_RSRC2:TIDIG_COMP_CNT: 0
	.section	.text._ZL9mul_mat_fI15__hip_bfloat162Li32ELi3ELi5ELb0EEvPKT_PKfPKiPfiiiiiiiiiiiiiiii,"axG",@progbits,_ZL9mul_mat_fI15__hip_bfloat162Li32ELi3ELi5ELb0EEvPKT_PKfPKiPfiiiiiiiiiiiiiiii,comdat
	.globl	_ZL9mul_mat_fI15__hip_bfloat162Li32ELi3ELi5ELb0EEvPKT_PKfPKiPfiiiiiiiiiiiiiiii ; -- Begin function _ZL9mul_mat_fI15__hip_bfloat162Li32ELi3ELi5ELb0EEvPKT_PKfPKiPfiiiiiiiiiiiiiiii
	.p2align	8
	.type	_ZL9mul_mat_fI15__hip_bfloat162Li32ELi3ELi5ELb0EEvPKT_PKfPKiPfiiiiiiiiiiiiiiii,@function
_ZL9mul_mat_fI15__hip_bfloat162Li32ELi3ELi5ELb0EEvPKT_PKfPKiPfiiiiiiiiiiiiiiii: ; @_ZL9mul_mat_fI15__hip_bfloat162Li32ELi3ELi5ELb0EEvPKT_PKfPKiPfiiiiiiiiiiiiiiii
; %bb.0:
	s_add_u32 s0, s0, s7
	s_addc_u32 s1, s1, 0
	s_add_u32 s8, s4, 0x60
	s_addc_u32 s9, s5, 0
	s_getpc_b64 s[4:5]
	s_add_u32 s4, s4, __FUNCTION__._ZL9mul_mat_fIfLi32ELi3ELi1ELb1EEvPKT_PKfPKiPfiiiiiiiiiiiiiiii@rel32@lo+4
	s_addc_u32 s5, s5, __FUNCTION__._ZL9mul_mat_fIfLi32ELi3ELi1ELb1EEvPKT_PKfPKiPfiiiiiiiiiiiiiiii@rel32@hi+12
	s_getpc_b64 s[6:7]
	s_add_u32 s6, s6, _ZL14no_device_codePKciS0_iS0_@rel32@lo+4
	s_addc_u32 s7, s7, _ZL14no_device_codePKciS0_iS0_@rel32@hi+12
	v_mov_b32_e32 v0, 0x124
	v_mov_b32_e32 v1, s4
	;; [unrolled: 1-line block ×3, first 2 shown]
	s_mov_b32 s32, 0
	s_swappc_b64 s[30:31], s[6:7]
	.section	.rodata,"a",@progbits
	.p2align	6, 0x0
	.amdhsa_kernel _ZL9mul_mat_fI15__hip_bfloat162Li32ELi3ELi5ELb0EEvPKT_PKfPKiPfiiiiiiiiiiiiiiii
		.amdhsa_group_segment_fixed_size 0
		.amdhsa_private_segment_fixed_size 16
		.amdhsa_kernarg_size 352
		.amdhsa_user_sgpr_count 6
		.amdhsa_user_sgpr_private_segment_buffer 1
		.amdhsa_user_sgpr_dispatch_ptr 0
		.amdhsa_user_sgpr_queue_ptr 0
		.amdhsa_user_sgpr_kernarg_segment_ptr 1
		.amdhsa_user_sgpr_dispatch_id 0
		.amdhsa_user_sgpr_flat_scratch_init 0
		.amdhsa_user_sgpr_private_segment_size 0
		.amdhsa_uses_dynamic_stack 0
		.amdhsa_system_sgpr_private_segment_wavefront_offset 1
		.amdhsa_system_sgpr_workgroup_id_x 1
		.amdhsa_system_sgpr_workgroup_id_y 0
		.amdhsa_system_sgpr_workgroup_id_z 0
		.amdhsa_system_sgpr_workgroup_info 0
		.amdhsa_system_vgpr_workitem_id 0
		.amdhsa_next_free_vgpr 38
		.amdhsa_next_free_sgpr 34
		.amdhsa_reserve_vcc 1
		.amdhsa_reserve_flat_scratch 0
		.amdhsa_float_round_mode_32 0
		.amdhsa_float_round_mode_16_64 0
		.amdhsa_float_denorm_mode_32 3
		.amdhsa_float_denorm_mode_16_64 3
		.amdhsa_dx10_clamp 1
		.amdhsa_ieee_mode 1
		.amdhsa_fp16_overflow 0
		.amdhsa_exception_fp_ieee_invalid_op 0
		.amdhsa_exception_fp_denorm_src 0
		.amdhsa_exception_fp_ieee_div_zero 0
		.amdhsa_exception_fp_ieee_overflow 0
		.amdhsa_exception_fp_ieee_underflow 0
		.amdhsa_exception_fp_ieee_inexact 0
		.amdhsa_exception_int_div_zero 0
	.end_amdhsa_kernel
	.section	.text._ZL9mul_mat_fI15__hip_bfloat162Li32ELi3ELi5ELb0EEvPKT_PKfPKiPfiiiiiiiiiiiiiiii,"axG",@progbits,_ZL9mul_mat_fI15__hip_bfloat162Li32ELi3ELi5ELb0EEvPKT_PKfPKiPfiiiiiiiiiiiiiiii,comdat
.Lfunc_end65:
	.size	_ZL9mul_mat_fI15__hip_bfloat162Li32ELi3ELi5ELb0EEvPKT_PKfPKiPfiiiiiiiiiiiiiiii, .Lfunc_end65-_ZL9mul_mat_fI15__hip_bfloat162Li32ELi3ELi5ELb0EEvPKT_PKfPKiPfiiiiiiiiiiiiiiii
                                        ; -- End function
	.set _ZL9mul_mat_fI15__hip_bfloat162Li32ELi3ELi5ELb0EEvPKT_PKfPKiPfiiiiiiiiiiiiiiii.num_vgpr, max(3, .L_ZL14no_device_codePKciS0_iS0_.num_vgpr)
	.set _ZL9mul_mat_fI15__hip_bfloat162Li32ELi3ELi5ELb0EEvPKT_PKfPKiPfiiiiiiiiiiiiiiii.num_agpr, max(0, .L_ZL14no_device_codePKciS0_iS0_.num_agpr)
	.set _ZL9mul_mat_fI15__hip_bfloat162Li32ELi3ELi5ELb0EEvPKT_PKfPKiPfiiiiiiiiiiiiiiii.numbered_sgpr, max(33, .L_ZL14no_device_codePKciS0_iS0_.numbered_sgpr)
	.set _ZL9mul_mat_fI15__hip_bfloat162Li32ELi3ELi5ELb0EEvPKT_PKfPKiPfiiiiiiiiiiiiiiii.num_named_barrier, max(0, .L_ZL14no_device_codePKciS0_iS0_.num_named_barrier)
	.set _ZL9mul_mat_fI15__hip_bfloat162Li32ELi3ELi5ELb0EEvPKT_PKfPKiPfiiiiiiiiiiiiiiii.private_seg_size, 0+max(.L_ZL14no_device_codePKciS0_iS0_.private_seg_size)
	.set _ZL9mul_mat_fI15__hip_bfloat162Li32ELi3ELi5ELb0EEvPKT_PKfPKiPfiiiiiiiiiiiiiiii.uses_vcc, or(1, .L_ZL14no_device_codePKciS0_iS0_.uses_vcc)
	.set _ZL9mul_mat_fI15__hip_bfloat162Li32ELi3ELi5ELb0EEvPKT_PKfPKiPfiiiiiiiiiiiiiiii.uses_flat_scratch, or(0, .L_ZL14no_device_codePKciS0_iS0_.uses_flat_scratch)
	.set _ZL9mul_mat_fI15__hip_bfloat162Li32ELi3ELi5ELb0EEvPKT_PKfPKiPfiiiiiiiiiiiiiiii.has_dyn_sized_stack, or(0, .L_ZL14no_device_codePKciS0_iS0_.has_dyn_sized_stack)
	.set _ZL9mul_mat_fI15__hip_bfloat162Li32ELi3ELi5ELb0EEvPKT_PKfPKiPfiiiiiiiiiiiiiiii.has_recursion, or(0, .L_ZL14no_device_codePKciS0_iS0_.has_recursion)
	.set _ZL9mul_mat_fI15__hip_bfloat162Li32ELi3ELi5ELb0EEvPKT_PKfPKiPfiiiiiiiiiiiiiiii.has_indirect_call, or(0, .L_ZL14no_device_codePKciS0_iS0_.has_indirect_call)
	.section	.AMDGPU.csdata,"",@progbits
; Kernel info:
; codeLenInByte = 84
; TotalNumSgprs: 38
; NumVgprs: 38
; ScratchSize: 16
; MemoryBound: 0
; FloatMode: 240
; IeeeMode: 1
; LDSByteSize: 0 bytes/workgroup (compile time only)
; SGPRBlocks: 4
; VGPRBlocks: 9
; NumSGPRsForWavesPerEU: 38
; NumVGPRsForWavesPerEU: 38
; Occupancy: 6
; WaveLimiterHint : 1
; COMPUTE_PGM_RSRC2:SCRATCH_EN: 1
; COMPUTE_PGM_RSRC2:USER_SGPR: 6
; COMPUTE_PGM_RSRC2:TRAP_HANDLER: 0
; COMPUTE_PGM_RSRC2:TGID_X_EN: 1
; COMPUTE_PGM_RSRC2:TGID_Y_EN: 0
; COMPUTE_PGM_RSRC2:TGID_Z_EN: 0
; COMPUTE_PGM_RSRC2:TIDIG_COMP_CNT: 0
	.section	.text._ZL13mul_mat_f_idsI15__hip_bfloat162Li32ELi3ELi6EEvPKT_PKfPKiS7_S7_Pfiiiiiiiiiiiiii15HIP_vector_typeIjLj3EESA_,"axG",@progbits,_ZL13mul_mat_f_idsI15__hip_bfloat162Li32ELi3ELi6EEvPKT_PKfPKiS7_S7_Pfiiiiiiiiiiiiii15HIP_vector_typeIjLj3EESA_,comdat
	.globl	_ZL13mul_mat_f_idsI15__hip_bfloat162Li32ELi3ELi6EEvPKT_PKfPKiS7_S7_Pfiiiiiiiiiiiiii15HIP_vector_typeIjLj3EESA_ ; -- Begin function _ZL13mul_mat_f_idsI15__hip_bfloat162Li32ELi3ELi6EEvPKT_PKfPKiS7_S7_Pfiiiiiiiiiiiiii15HIP_vector_typeIjLj3EESA_
	.p2align	8
	.type	_ZL13mul_mat_f_idsI15__hip_bfloat162Li32ELi3ELi6EEvPKT_PKfPKiS7_S7_Pfiiiiiiiiiiiiii15HIP_vector_typeIjLj3EESA_,@function
_ZL13mul_mat_f_idsI15__hip_bfloat162Li32ELi3ELi6EEvPKT_PKfPKiS7_S7_Pfiiiiiiiiiiiiii15HIP_vector_typeIjLj3EESA_: ; @_ZL13mul_mat_f_idsI15__hip_bfloat162Li32ELi3ELi6EEvPKT_PKfPKiS7_S7_Pfiiiiiiiiiiiiii15HIP_vector_typeIjLj3EESA_
; %bb.0:
	s_add_u32 s0, s0, s7
	s_addc_u32 s1, s1, 0
	s_add_u32 s8, s4, 0x80
	s_addc_u32 s9, s5, 0
	s_getpc_b64 s[4:5]
	s_add_u32 s4, s4, __FUNCTION__._ZL13mul_mat_f_idsIfLi32ELi3ELi1EEvPKT_PKfPKiS6_S6_Pfiiiiiiiiiiiiii15HIP_vector_typeIjLj3EES9_@rel32@lo+4
	s_addc_u32 s5, s5, __FUNCTION__._ZL13mul_mat_f_idsIfLi32ELi3ELi1EEvPKT_PKfPKiS6_S6_Pfiiiiiiiiiiiiii15HIP_vector_typeIjLj3EES9_@rel32@hi+12
	s_getpc_b64 s[6:7]
	s_add_u32 s6, s6, _ZL14no_device_codePKciS0_iS0_@rel32@lo+4
	s_addc_u32 s7, s7, _ZL14no_device_codePKciS0_iS0_@rel32@hi+12
	v_mov_b32_e32 v0, 0x238
	v_mov_b32_e32 v1, s4
	;; [unrolled: 1-line block ×3, first 2 shown]
	s_mov_b32 s32, 0
	s_swappc_b64 s[30:31], s[6:7]
	.section	.rodata,"a",@progbits
	.p2align	6, 0x0
	.amdhsa_kernel _ZL13mul_mat_f_idsI15__hip_bfloat162Li32ELi3ELi6EEvPKT_PKfPKiS7_S7_Pfiiiiiiiiiiiiii15HIP_vector_typeIjLj3EESA_
		.amdhsa_group_segment_fixed_size 0
		.amdhsa_private_segment_fixed_size 16
		.amdhsa_kernarg_size 384
		.amdhsa_user_sgpr_count 6
		.amdhsa_user_sgpr_private_segment_buffer 1
		.amdhsa_user_sgpr_dispatch_ptr 0
		.amdhsa_user_sgpr_queue_ptr 0
		.amdhsa_user_sgpr_kernarg_segment_ptr 1
		.amdhsa_user_sgpr_dispatch_id 0
		.amdhsa_user_sgpr_flat_scratch_init 0
		.amdhsa_user_sgpr_private_segment_size 0
		.amdhsa_uses_dynamic_stack 0
		.amdhsa_system_sgpr_private_segment_wavefront_offset 1
		.amdhsa_system_sgpr_workgroup_id_x 1
		.amdhsa_system_sgpr_workgroup_id_y 0
		.amdhsa_system_sgpr_workgroup_id_z 0
		.amdhsa_system_sgpr_workgroup_info 0
		.amdhsa_system_vgpr_workitem_id 0
		.amdhsa_next_free_vgpr 38
		.amdhsa_next_free_sgpr 34
		.amdhsa_reserve_vcc 1
		.amdhsa_reserve_flat_scratch 0
		.amdhsa_float_round_mode_32 0
		.amdhsa_float_round_mode_16_64 0
		.amdhsa_float_denorm_mode_32 3
		.amdhsa_float_denorm_mode_16_64 3
		.amdhsa_dx10_clamp 1
		.amdhsa_ieee_mode 1
		.amdhsa_fp16_overflow 0
		.amdhsa_exception_fp_ieee_invalid_op 0
		.amdhsa_exception_fp_denorm_src 0
		.amdhsa_exception_fp_ieee_div_zero 0
		.amdhsa_exception_fp_ieee_overflow 0
		.amdhsa_exception_fp_ieee_underflow 0
		.amdhsa_exception_fp_ieee_inexact 0
		.amdhsa_exception_int_div_zero 0
	.end_amdhsa_kernel
	.section	.text._ZL13mul_mat_f_idsI15__hip_bfloat162Li32ELi3ELi6EEvPKT_PKfPKiS7_S7_Pfiiiiiiiiiiiiii15HIP_vector_typeIjLj3EESA_,"axG",@progbits,_ZL13mul_mat_f_idsI15__hip_bfloat162Li32ELi3ELi6EEvPKT_PKfPKiS7_S7_Pfiiiiiiiiiiiiii15HIP_vector_typeIjLj3EESA_,comdat
.Lfunc_end66:
	.size	_ZL13mul_mat_f_idsI15__hip_bfloat162Li32ELi3ELi6EEvPKT_PKfPKiS7_S7_Pfiiiiiiiiiiiiii15HIP_vector_typeIjLj3EESA_, .Lfunc_end66-_ZL13mul_mat_f_idsI15__hip_bfloat162Li32ELi3ELi6EEvPKT_PKfPKiS7_S7_Pfiiiiiiiiiiiiii15HIP_vector_typeIjLj3EESA_
                                        ; -- End function
	.set _ZL13mul_mat_f_idsI15__hip_bfloat162Li32ELi3ELi6EEvPKT_PKfPKiS7_S7_Pfiiiiiiiiiiiiii15HIP_vector_typeIjLj3EESA_.num_vgpr, max(3, .L_ZL14no_device_codePKciS0_iS0_.num_vgpr)
	.set _ZL13mul_mat_f_idsI15__hip_bfloat162Li32ELi3ELi6EEvPKT_PKfPKiS7_S7_Pfiiiiiiiiiiiiii15HIP_vector_typeIjLj3EESA_.num_agpr, max(0, .L_ZL14no_device_codePKciS0_iS0_.num_agpr)
	.set _ZL13mul_mat_f_idsI15__hip_bfloat162Li32ELi3ELi6EEvPKT_PKfPKiS7_S7_Pfiiiiiiiiiiiiii15HIP_vector_typeIjLj3EESA_.numbered_sgpr, max(33, .L_ZL14no_device_codePKciS0_iS0_.numbered_sgpr)
	.set _ZL13mul_mat_f_idsI15__hip_bfloat162Li32ELi3ELi6EEvPKT_PKfPKiS7_S7_Pfiiiiiiiiiiiiii15HIP_vector_typeIjLj3EESA_.num_named_barrier, max(0, .L_ZL14no_device_codePKciS0_iS0_.num_named_barrier)
	.set _ZL13mul_mat_f_idsI15__hip_bfloat162Li32ELi3ELi6EEvPKT_PKfPKiS7_S7_Pfiiiiiiiiiiiiii15HIP_vector_typeIjLj3EESA_.private_seg_size, 0+max(.L_ZL14no_device_codePKciS0_iS0_.private_seg_size)
	.set _ZL13mul_mat_f_idsI15__hip_bfloat162Li32ELi3ELi6EEvPKT_PKfPKiS7_S7_Pfiiiiiiiiiiiiii15HIP_vector_typeIjLj3EESA_.uses_vcc, or(1, .L_ZL14no_device_codePKciS0_iS0_.uses_vcc)
	.set _ZL13mul_mat_f_idsI15__hip_bfloat162Li32ELi3ELi6EEvPKT_PKfPKiS7_S7_Pfiiiiiiiiiiiiii15HIP_vector_typeIjLj3EESA_.uses_flat_scratch, or(0, .L_ZL14no_device_codePKciS0_iS0_.uses_flat_scratch)
	.set _ZL13mul_mat_f_idsI15__hip_bfloat162Li32ELi3ELi6EEvPKT_PKfPKiS7_S7_Pfiiiiiiiiiiiiii15HIP_vector_typeIjLj3EESA_.has_dyn_sized_stack, or(0, .L_ZL14no_device_codePKciS0_iS0_.has_dyn_sized_stack)
	.set _ZL13mul_mat_f_idsI15__hip_bfloat162Li32ELi3ELi6EEvPKT_PKfPKiS7_S7_Pfiiiiiiiiiiiiii15HIP_vector_typeIjLj3EESA_.has_recursion, or(0, .L_ZL14no_device_codePKciS0_iS0_.has_recursion)
	.set _ZL13mul_mat_f_idsI15__hip_bfloat162Li32ELi3ELi6EEvPKT_PKfPKiS7_S7_Pfiiiiiiiiiiiiii15HIP_vector_typeIjLj3EESA_.has_indirect_call, or(0, .L_ZL14no_device_codePKciS0_iS0_.has_indirect_call)
	.section	.AMDGPU.csdata,"",@progbits
; Kernel info:
; codeLenInByte = 84
; TotalNumSgprs: 38
; NumVgprs: 38
; ScratchSize: 16
; MemoryBound: 0
; FloatMode: 240
; IeeeMode: 1
; LDSByteSize: 0 bytes/workgroup (compile time only)
; SGPRBlocks: 4
; VGPRBlocks: 9
; NumSGPRsForWavesPerEU: 38
; NumVGPRsForWavesPerEU: 38
; Occupancy: 6
; WaveLimiterHint : 1
; COMPUTE_PGM_RSRC2:SCRATCH_EN: 1
; COMPUTE_PGM_RSRC2:USER_SGPR: 6
; COMPUTE_PGM_RSRC2:TRAP_HANDLER: 0
; COMPUTE_PGM_RSRC2:TGID_X_EN: 1
; COMPUTE_PGM_RSRC2:TGID_Y_EN: 0
; COMPUTE_PGM_RSRC2:TGID_Z_EN: 0
; COMPUTE_PGM_RSRC2:TIDIG_COMP_CNT: 0
	.section	.text._ZL9mul_mat_fI15__hip_bfloat162Li32ELi3ELi6ELb1EEvPKT_PKfPKiPfiiiiiiiiiiiiiiii,"axG",@progbits,_ZL9mul_mat_fI15__hip_bfloat162Li32ELi3ELi6ELb1EEvPKT_PKfPKiPfiiiiiiiiiiiiiiii,comdat
	.globl	_ZL9mul_mat_fI15__hip_bfloat162Li32ELi3ELi6ELb1EEvPKT_PKfPKiPfiiiiiiiiiiiiiiii ; -- Begin function _ZL9mul_mat_fI15__hip_bfloat162Li32ELi3ELi6ELb1EEvPKT_PKfPKiPfiiiiiiiiiiiiiiii
	.p2align	8
	.type	_ZL9mul_mat_fI15__hip_bfloat162Li32ELi3ELi6ELb1EEvPKT_PKfPKiPfiiiiiiiiiiiiiiii,@function
_ZL9mul_mat_fI15__hip_bfloat162Li32ELi3ELi6ELb1EEvPKT_PKfPKiPfiiiiiiiiiiiiiiii: ; @_ZL9mul_mat_fI15__hip_bfloat162Li32ELi3ELi6ELb1EEvPKT_PKfPKiPfiiiiiiiiiiiiiiii
; %bb.0:
	s_add_u32 s0, s0, s7
	s_addc_u32 s1, s1, 0
	s_add_u32 s8, s4, 0x60
	s_addc_u32 s9, s5, 0
	s_getpc_b64 s[4:5]
	s_add_u32 s4, s4, __FUNCTION__._ZL9mul_mat_fIfLi32ELi3ELi1ELb1EEvPKT_PKfPKiPfiiiiiiiiiiiiiiii@rel32@lo+4
	s_addc_u32 s5, s5, __FUNCTION__._ZL9mul_mat_fIfLi32ELi3ELi1ELb1EEvPKT_PKfPKiPfiiiiiiiiiiiiiiii@rel32@hi+12
	s_getpc_b64 s[6:7]
	s_add_u32 s6, s6, _ZL14no_device_codePKciS0_iS0_@rel32@lo+4
	s_addc_u32 s7, s7, _ZL14no_device_codePKciS0_iS0_@rel32@hi+12
	v_mov_b32_e32 v0, 0x124
	v_mov_b32_e32 v1, s4
	;; [unrolled: 1-line block ×3, first 2 shown]
	s_mov_b32 s32, 0
	s_swappc_b64 s[30:31], s[6:7]
	.section	.rodata,"a",@progbits
	.p2align	6, 0x0
	.amdhsa_kernel _ZL9mul_mat_fI15__hip_bfloat162Li32ELi3ELi6ELb1EEvPKT_PKfPKiPfiiiiiiiiiiiiiiii
		.amdhsa_group_segment_fixed_size 0
		.amdhsa_private_segment_fixed_size 16
		.amdhsa_kernarg_size 352
		.amdhsa_user_sgpr_count 6
		.amdhsa_user_sgpr_private_segment_buffer 1
		.amdhsa_user_sgpr_dispatch_ptr 0
		.amdhsa_user_sgpr_queue_ptr 0
		.amdhsa_user_sgpr_kernarg_segment_ptr 1
		.amdhsa_user_sgpr_dispatch_id 0
		.amdhsa_user_sgpr_flat_scratch_init 0
		.amdhsa_user_sgpr_private_segment_size 0
		.amdhsa_uses_dynamic_stack 0
		.amdhsa_system_sgpr_private_segment_wavefront_offset 1
		.amdhsa_system_sgpr_workgroup_id_x 1
		.amdhsa_system_sgpr_workgroup_id_y 0
		.amdhsa_system_sgpr_workgroup_id_z 0
		.amdhsa_system_sgpr_workgroup_info 0
		.amdhsa_system_vgpr_workitem_id 0
		.amdhsa_next_free_vgpr 38
		.amdhsa_next_free_sgpr 34
		.amdhsa_reserve_vcc 1
		.amdhsa_reserve_flat_scratch 0
		.amdhsa_float_round_mode_32 0
		.amdhsa_float_round_mode_16_64 0
		.amdhsa_float_denorm_mode_32 3
		.amdhsa_float_denorm_mode_16_64 3
		.amdhsa_dx10_clamp 1
		.amdhsa_ieee_mode 1
		.amdhsa_fp16_overflow 0
		.amdhsa_exception_fp_ieee_invalid_op 0
		.amdhsa_exception_fp_denorm_src 0
		.amdhsa_exception_fp_ieee_div_zero 0
		.amdhsa_exception_fp_ieee_overflow 0
		.amdhsa_exception_fp_ieee_underflow 0
		.amdhsa_exception_fp_ieee_inexact 0
		.amdhsa_exception_int_div_zero 0
	.end_amdhsa_kernel
	.section	.text._ZL9mul_mat_fI15__hip_bfloat162Li32ELi3ELi6ELb1EEvPKT_PKfPKiPfiiiiiiiiiiiiiiii,"axG",@progbits,_ZL9mul_mat_fI15__hip_bfloat162Li32ELi3ELi6ELb1EEvPKT_PKfPKiPfiiiiiiiiiiiiiiii,comdat
.Lfunc_end67:
	.size	_ZL9mul_mat_fI15__hip_bfloat162Li32ELi3ELi6ELb1EEvPKT_PKfPKiPfiiiiiiiiiiiiiiii, .Lfunc_end67-_ZL9mul_mat_fI15__hip_bfloat162Li32ELi3ELi6ELb1EEvPKT_PKfPKiPfiiiiiiiiiiiiiiii
                                        ; -- End function
	.set _ZL9mul_mat_fI15__hip_bfloat162Li32ELi3ELi6ELb1EEvPKT_PKfPKiPfiiiiiiiiiiiiiiii.num_vgpr, max(3, .L_ZL14no_device_codePKciS0_iS0_.num_vgpr)
	.set _ZL9mul_mat_fI15__hip_bfloat162Li32ELi3ELi6ELb1EEvPKT_PKfPKiPfiiiiiiiiiiiiiiii.num_agpr, max(0, .L_ZL14no_device_codePKciS0_iS0_.num_agpr)
	.set _ZL9mul_mat_fI15__hip_bfloat162Li32ELi3ELi6ELb1EEvPKT_PKfPKiPfiiiiiiiiiiiiiiii.numbered_sgpr, max(33, .L_ZL14no_device_codePKciS0_iS0_.numbered_sgpr)
	.set _ZL9mul_mat_fI15__hip_bfloat162Li32ELi3ELi6ELb1EEvPKT_PKfPKiPfiiiiiiiiiiiiiiii.num_named_barrier, max(0, .L_ZL14no_device_codePKciS0_iS0_.num_named_barrier)
	.set _ZL9mul_mat_fI15__hip_bfloat162Li32ELi3ELi6ELb1EEvPKT_PKfPKiPfiiiiiiiiiiiiiiii.private_seg_size, 0+max(.L_ZL14no_device_codePKciS0_iS0_.private_seg_size)
	.set _ZL9mul_mat_fI15__hip_bfloat162Li32ELi3ELi6ELb1EEvPKT_PKfPKiPfiiiiiiiiiiiiiiii.uses_vcc, or(1, .L_ZL14no_device_codePKciS0_iS0_.uses_vcc)
	.set _ZL9mul_mat_fI15__hip_bfloat162Li32ELi3ELi6ELb1EEvPKT_PKfPKiPfiiiiiiiiiiiiiiii.uses_flat_scratch, or(0, .L_ZL14no_device_codePKciS0_iS0_.uses_flat_scratch)
	.set _ZL9mul_mat_fI15__hip_bfloat162Li32ELi3ELi6ELb1EEvPKT_PKfPKiPfiiiiiiiiiiiiiiii.has_dyn_sized_stack, or(0, .L_ZL14no_device_codePKciS0_iS0_.has_dyn_sized_stack)
	.set _ZL9mul_mat_fI15__hip_bfloat162Li32ELi3ELi6ELb1EEvPKT_PKfPKiPfiiiiiiiiiiiiiiii.has_recursion, or(0, .L_ZL14no_device_codePKciS0_iS0_.has_recursion)
	.set _ZL9mul_mat_fI15__hip_bfloat162Li32ELi3ELi6ELb1EEvPKT_PKfPKiPfiiiiiiiiiiiiiiii.has_indirect_call, or(0, .L_ZL14no_device_codePKciS0_iS0_.has_indirect_call)
	.section	.AMDGPU.csdata,"",@progbits
; Kernel info:
; codeLenInByte = 84
; TotalNumSgprs: 38
; NumVgprs: 38
; ScratchSize: 16
; MemoryBound: 0
; FloatMode: 240
; IeeeMode: 1
; LDSByteSize: 0 bytes/workgroup (compile time only)
; SGPRBlocks: 4
; VGPRBlocks: 9
; NumSGPRsForWavesPerEU: 38
; NumVGPRsForWavesPerEU: 38
; Occupancy: 6
; WaveLimiterHint : 1
; COMPUTE_PGM_RSRC2:SCRATCH_EN: 1
; COMPUTE_PGM_RSRC2:USER_SGPR: 6
; COMPUTE_PGM_RSRC2:TRAP_HANDLER: 0
; COMPUTE_PGM_RSRC2:TGID_X_EN: 1
; COMPUTE_PGM_RSRC2:TGID_Y_EN: 0
; COMPUTE_PGM_RSRC2:TGID_Z_EN: 0
; COMPUTE_PGM_RSRC2:TIDIG_COMP_CNT: 0
	.section	.text._ZL9mul_mat_fI15__hip_bfloat162Li32ELi3ELi6ELb0EEvPKT_PKfPKiPfiiiiiiiiiiiiiiii,"axG",@progbits,_ZL9mul_mat_fI15__hip_bfloat162Li32ELi3ELi6ELb0EEvPKT_PKfPKiPfiiiiiiiiiiiiiiii,comdat
	.globl	_ZL9mul_mat_fI15__hip_bfloat162Li32ELi3ELi6ELb0EEvPKT_PKfPKiPfiiiiiiiiiiiiiiii ; -- Begin function _ZL9mul_mat_fI15__hip_bfloat162Li32ELi3ELi6ELb0EEvPKT_PKfPKiPfiiiiiiiiiiiiiiii
	.p2align	8
	.type	_ZL9mul_mat_fI15__hip_bfloat162Li32ELi3ELi6ELb0EEvPKT_PKfPKiPfiiiiiiiiiiiiiiii,@function
_ZL9mul_mat_fI15__hip_bfloat162Li32ELi3ELi6ELb0EEvPKT_PKfPKiPfiiiiiiiiiiiiiiii: ; @_ZL9mul_mat_fI15__hip_bfloat162Li32ELi3ELi6ELb0EEvPKT_PKfPKiPfiiiiiiiiiiiiiiii
; %bb.0:
	s_add_u32 s0, s0, s7
	s_addc_u32 s1, s1, 0
	s_add_u32 s8, s4, 0x60
	s_addc_u32 s9, s5, 0
	s_getpc_b64 s[4:5]
	s_add_u32 s4, s4, __FUNCTION__._ZL9mul_mat_fIfLi32ELi3ELi1ELb1EEvPKT_PKfPKiPfiiiiiiiiiiiiiiii@rel32@lo+4
	s_addc_u32 s5, s5, __FUNCTION__._ZL9mul_mat_fIfLi32ELi3ELi1ELb1EEvPKT_PKfPKiPfiiiiiiiiiiiiiiii@rel32@hi+12
	s_getpc_b64 s[6:7]
	s_add_u32 s6, s6, _ZL14no_device_codePKciS0_iS0_@rel32@lo+4
	s_addc_u32 s7, s7, _ZL14no_device_codePKciS0_iS0_@rel32@hi+12
	v_mov_b32_e32 v0, 0x124
	v_mov_b32_e32 v1, s4
	;; [unrolled: 1-line block ×3, first 2 shown]
	s_mov_b32 s32, 0
	s_swappc_b64 s[30:31], s[6:7]
	.section	.rodata,"a",@progbits
	.p2align	6, 0x0
	.amdhsa_kernel _ZL9mul_mat_fI15__hip_bfloat162Li32ELi3ELi6ELb0EEvPKT_PKfPKiPfiiiiiiiiiiiiiiii
		.amdhsa_group_segment_fixed_size 0
		.amdhsa_private_segment_fixed_size 16
		.amdhsa_kernarg_size 352
		.amdhsa_user_sgpr_count 6
		.amdhsa_user_sgpr_private_segment_buffer 1
		.amdhsa_user_sgpr_dispatch_ptr 0
		.amdhsa_user_sgpr_queue_ptr 0
		.amdhsa_user_sgpr_kernarg_segment_ptr 1
		.amdhsa_user_sgpr_dispatch_id 0
		.amdhsa_user_sgpr_flat_scratch_init 0
		.amdhsa_user_sgpr_private_segment_size 0
		.amdhsa_uses_dynamic_stack 0
		.amdhsa_system_sgpr_private_segment_wavefront_offset 1
		.amdhsa_system_sgpr_workgroup_id_x 1
		.amdhsa_system_sgpr_workgroup_id_y 0
		.amdhsa_system_sgpr_workgroup_id_z 0
		.amdhsa_system_sgpr_workgroup_info 0
		.amdhsa_system_vgpr_workitem_id 0
		.amdhsa_next_free_vgpr 38
		.amdhsa_next_free_sgpr 34
		.amdhsa_reserve_vcc 1
		.amdhsa_reserve_flat_scratch 0
		.amdhsa_float_round_mode_32 0
		.amdhsa_float_round_mode_16_64 0
		.amdhsa_float_denorm_mode_32 3
		.amdhsa_float_denorm_mode_16_64 3
		.amdhsa_dx10_clamp 1
		.amdhsa_ieee_mode 1
		.amdhsa_fp16_overflow 0
		.amdhsa_exception_fp_ieee_invalid_op 0
		.amdhsa_exception_fp_denorm_src 0
		.amdhsa_exception_fp_ieee_div_zero 0
		.amdhsa_exception_fp_ieee_overflow 0
		.amdhsa_exception_fp_ieee_underflow 0
		.amdhsa_exception_fp_ieee_inexact 0
		.amdhsa_exception_int_div_zero 0
	.end_amdhsa_kernel
	.section	.text._ZL9mul_mat_fI15__hip_bfloat162Li32ELi3ELi6ELb0EEvPKT_PKfPKiPfiiiiiiiiiiiiiiii,"axG",@progbits,_ZL9mul_mat_fI15__hip_bfloat162Li32ELi3ELi6ELb0EEvPKT_PKfPKiPfiiiiiiiiiiiiiiii,comdat
.Lfunc_end68:
	.size	_ZL9mul_mat_fI15__hip_bfloat162Li32ELi3ELi6ELb0EEvPKT_PKfPKiPfiiiiiiiiiiiiiiii, .Lfunc_end68-_ZL9mul_mat_fI15__hip_bfloat162Li32ELi3ELi6ELb0EEvPKT_PKfPKiPfiiiiiiiiiiiiiiii
                                        ; -- End function
	.set _ZL9mul_mat_fI15__hip_bfloat162Li32ELi3ELi6ELb0EEvPKT_PKfPKiPfiiiiiiiiiiiiiiii.num_vgpr, max(3, .L_ZL14no_device_codePKciS0_iS0_.num_vgpr)
	.set _ZL9mul_mat_fI15__hip_bfloat162Li32ELi3ELi6ELb0EEvPKT_PKfPKiPfiiiiiiiiiiiiiiii.num_agpr, max(0, .L_ZL14no_device_codePKciS0_iS0_.num_agpr)
	.set _ZL9mul_mat_fI15__hip_bfloat162Li32ELi3ELi6ELb0EEvPKT_PKfPKiPfiiiiiiiiiiiiiiii.numbered_sgpr, max(33, .L_ZL14no_device_codePKciS0_iS0_.numbered_sgpr)
	.set _ZL9mul_mat_fI15__hip_bfloat162Li32ELi3ELi6ELb0EEvPKT_PKfPKiPfiiiiiiiiiiiiiiii.num_named_barrier, max(0, .L_ZL14no_device_codePKciS0_iS0_.num_named_barrier)
	.set _ZL9mul_mat_fI15__hip_bfloat162Li32ELi3ELi6ELb0EEvPKT_PKfPKiPfiiiiiiiiiiiiiiii.private_seg_size, 0+max(.L_ZL14no_device_codePKciS0_iS0_.private_seg_size)
	.set _ZL9mul_mat_fI15__hip_bfloat162Li32ELi3ELi6ELb0EEvPKT_PKfPKiPfiiiiiiiiiiiiiiii.uses_vcc, or(1, .L_ZL14no_device_codePKciS0_iS0_.uses_vcc)
	.set _ZL9mul_mat_fI15__hip_bfloat162Li32ELi3ELi6ELb0EEvPKT_PKfPKiPfiiiiiiiiiiiiiiii.uses_flat_scratch, or(0, .L_ZL14no_device_codePKciS0_iS0_.uses_flat_scratch)
	.set _ZL9mul_mat_fI15__hip_bfloat162Li32ELi3ELi6ELb0EEvPKT_PKfPKiPfiiiiiiiiiiiiiiii.has_dyn_sized_stack, or(0, .L_ZL14no_device_codePKciS0_iS0_.has_dyn_sized_stack)
	.set _ZL9mul_mat_fI15__hip_bfloat162Li32ELi3ELi6ELb0EEvPKT_PKfPKiPfiiiiiiiiiiiiiiii.has_recursion, or(0, .L_ZL14no_device_codePKciS0_iS0_.has_recursion)
	.set _ZL9mul_mat_fI15__hip_bfloat162Li32ELi3ELi6ELb0EEvPKT_PKfPKiPfiiiiiiiiiiiiiiii.has_indirect_call, or(0, .L_ZL14no_device_codePKciS0_iS0_.has_indirect_call)
	.section	.AMDGPU.csdata,"",@progbits
; Kernel info:
; codeLenInByte = 84
; TotalNumSgprs: 38
; NumVgprs: 38
; ScratchSize: 16
; MemoryBound: 0
; FloatMode: 240
; IeeeMode: 1
; LDSByteSize: 0 bytes/workgroup (compile time only)
; SGPRBlocks: 4
; VGPRBlocks: 9
; NumSGPRsForWavesPerEU: 38
; NumVGPRsForWavesPerEU: 38
; Occupancy: 6
; WaveLimiterHint : 1
; COMPUTE_PGM_RSRC2:SCRATCH_EN: 1
; COMPUTE_PGM_RSRC2:USER_SGPR: 6
; COMPUTE_PGM_RSRC2:TRAP_HANDLER: 0
; COMPUTE_PGM_RSRC2:TGID_X_EN: 1
; COMPUTE_PGM_RSRC2:TGID_Y_EN: 0
; COMPUTE_PGM_RSRC2:TGID_Z_EN: 0
; COMPUTE_PGM_RSRC2:TIDIG_COMP_CNT: 0
	.section	.text._ZL13mul_mat_f_idsI15__hip_bfloat162Li32ELi3ELi7EEvPKT_PKfPKiS7_S7_Pfiiiiiiiiiiiiii15HIP_vector_typeIjLj3EESA_,"axG",@progbits,_ZL13mul_mat_f_idsI15__hip_bfloat162Li32ELi3ELi7EEvPKT_PKfPKiS7_S7_Pfiiiiiiiiiiiiii15HIP_vector_typeIjLj3EESA_,comdat
	.globl	_ZL13mul_mat_f_idsI15__hip_bfloat162Li32ELi3ELi7EEvPKT_PKfPKiS7_S7_Pfiiiiiiiiiiiiii15HIP_vector_typeIjLj3EESA_ ; -- Begin function _ZL13mul_mat_f_idsI15__hip_bfloat162Li32ELi3ELi7EEvPKT_PKfPKiS7_S7_Pfiiiiiiiiiiiiii15HIP_vector_typeIjLj3EESA_
	.p2align	8
	.type	_ZL13mul_mat_f_idsI15__hip_bfloat162Li32ELi3ELi7EEvPKT_PKfPKiS7_S7_Pfiiiiiiiiiiiiii15HIP_vector_typeIjLj3EESA_,@function
_ZL13mul_mat_f_idsI15__hip_bfloat162Li32ELi3ELi7EEvPKT_PKfPKiS7_S7_Pfiiiiiiiiiiiiii15HIP_vector_typeIjLj3EESA_: ; @_ZL13mul_mat_f_idsI15__hip_bfloat162Li32ELi3ELi7EEvPKT_PKfPKiS7_S7_Pfiiiiiiiiiiiiii15HIP_vector_typeIjLj3EESA_
; %bb.0:
	s_add_u32 s0, s0, s7
	s_addc_u32 s1, s1, 0
	s_add_u32 s8, s4, 0x80
	s_addc_u32 s9, s5, 0
	s_getpc_b64 s[4:5]
	s_add_u32 s4, s4, __FUNCTION__._ZL13mul_mat_f_idsIfLi32ELi3ELi1EEvPKT_PKfPKiS6_S6_Pfiiiiiiiiiiiiii15HIP_vector_typeIjLj3EES9_@rel32@lo+4
	s_addc_u32 s5, s5, __FUNCTION__._ZL13mul_mat_f_idsIfLi32ELi3ELi1EEvPKT_PKfPKiS6_S6_Pfiiiiiiiiiiiiii15HIP_vector_typeIjLj3EES9_@rel32@hi+12
	s_getpc_b64 s[6:7]
	s_add_u32 s6, s6, _ZL14no_device_codePKciS0_iS0_@rel32@lo+4
	s_addc_u32 s7, s7, _ZL14no_device_codePKciS0_iS0_@rel32@hi+12
	v_mov_b32_e32 v0, 0x238
	v_mov_b32_e32 v1, s4
	;; [unrolled: 1-line block ×3, first 2 shown]
	s_mov_b32 s32, 0
	s_swappc_b64 s[30:31], s[6:7]
	.section	.rodata,"a",@progbits
	.p2align	6, 0x0
	.amdhsa_kernel _ZL13mul_mat_f_idsI15__hip_bfloat162Li32ELi3ELi7EEvPKT_PKfPKiS7_S7_Pfiiiiiiiiiiiiii15HIP_vector_typeIjLj3EESA_
		.amdhsa_group_segment_fixed_size 0
		.amdhsa_private_segment_fixed_size 16
		.amdhsa_kernarg_size 384
		.amdhsa_user_sgpr_count 6
		.amdhsa_user_sgpr_private_segment_buffer 1
		.amdhsa_user_sgpr_dispatch_ptr 0
		.amdhsa_user_sgpr_queue_ptr 0
		.amdhsa_user_sgpr_kernarg_segment_ptr 1
		.amdhsa_user_sgpr_dispatch_id 0
		.amdhsa_user_sgpr_flat_scratch_init 0
		.amdhsa_user_sgpr_private_segment_size 0
		.amdhsa_uses_dynamic_stack 0
		.amdhsa_system_sgpr_private_segment_wavefront_offset 1
		.amdhsa_system_sgpr_workgroup_id_x 1
		.amdhsa_system_sgpr_workgroup_id_y 0
		.amdhsa_system_sgpr_workgroup_id_z 0
		.amdhsa_system_sgpr_workgroup_info 0
		.amdhsa_system_vgpr_workitem_id 0
		.amdhsa_next_free_vgpr 38
		.amdhsa_next_free_sgpr 34
		.amdhsa_reserve_vcc 1
		.amdhsa_reserve_flat_scratch 0
		.amdhsa_float_round_mode_32 0
		.amdhsa_float_round_mode_16_64 0
		.amdhsa_float_denorm_mode_32 3
		.amdhsa_float_denorm_mode_16_64 3
		.amdhsa_dx10_clamp 1
		.amdhsa_ieee_mode 1
		.amdhsa_fp16_overflow 0
		.amdhsa_exception_fp_ieee_invalid_op 0
		.amdhsa_exception_fp_denorm_src 0
		.amdhsa_exception_fp_ieee_div_zero 0
		.amdhsa_exception_fp_ieee_overflow 0
		.amdhsa_exception_fp_ieee_underflow 0
		.amdhsa_exception_fp_ieee_inexact 0
		.amdhsa_exception_int_div_zero 0
	.end_amdhsa_kernel
	.section	.text._ZL13mul_mat_f_idsI15__hip_bfloat162Li32ELi3ELi7EEvPKT_PKfPKiS7_S7_Pfiiiiiiiiiiiiii15HIP_vector_typeIjLj3EESA_,"axG",@progbits,_ZL13mul_mat_f_idsI15__hip_bfloat162Li32ELi3ELi7EEvPKT_PKfPKiS7_S7_Pfiiiiiiiiiiiiii15HIP_vector_typeIjLj3EESA_,comdat
.Lfunc_end69:
	.size	_ZL13mul_mat_f_idsI15__hip_bfloat162Li32ELi3ELi7EEvPKT_PKfPKiS7_S7_Pfiiiiiiiiiiiiii15HIP_vector_typeIjLj3EESA_, .Lfunc_end69-_ZL13mul_mat_f_idsI15__hip_bfloat162Li32ELi3ELi7EEvPKT_PKfPKiS7_S7_Pfiiiiiiiiiiiiii15HIP_vector_typeIjLj3EESA_
                                        ; -- End function
	.set _ZL13mul_mat_f_idsI15__hip_bfloat162Li32ELi3ELi7EEvPKT_PKfPKiS7_S7_Pfiiiiiiiiiiiiii15HIP_vector_typeIjLj3EESA_.num_vgpr, max(3, .L_ZL14no_device_codePKciS0_iS0_.num_vgpr)
	.set _ZL13mul_mat_f_idsI15__hip_bfloat162Li32ELi3ELi7EEvPKT_PKfPKiS7_S7_Pfiiiiiiiiiiiiii15HIP_vector_typeIjLj3EESA_.num_agpr, max(0, .L_ZL14no_device_codePKciS0_iS0_.num_agpr)
	.set _ZL13mul_mat_f_idsI15__hip_bfloat162Li32ELi3ELi7EEvPKT_PKfPKiS7_S7_Pfiiiiiiiiiiiiii15HIP_vector_typeIjLj3EESA_.numbered_sgpr, max(33, .L_ZL14no_device_codePKciS0_iS0_.numbered_sgpr)
	.set _ZL13mul_mat_f_idsI15__hip_bfloat162Li32ELi3ELi7EEvPKT_PKfPKiS7_S7_Pfiiiiiiiiiiiiii15HIP_vector_typeIjLj3EESA_.num_named_barrier, max(0, .L_ZL14no_device_codePKciS0_iS0_.num_named_barrier)
	.set _ZL13mul_mat_f_idsI15__hip_bfloat162Li32ELi3ELi7EEvPKT_PKfPKiS7_S7_Pfiiiiiiiiiiiiii15HIP_vector_typeIjLj3EESA_.private_seg_size, 0+max(.L_ZL14no_device_codePKciS0_iS0_.private_seg_size)
	.set _ZL13mul_mat_f_idsI15__hip_bfloat162Li32ELi3ELi7EEvPKT_PKfPKiS7_S7_Pfiiiiiiiiiiiiii15HIP_vector_typeIjLj3EESA_.uses_vcc, or(1, .L_ZL14no_device_codePKciS0_iS0_.uses_vcc)
	.set _ZL13mul_mat_f_idsI15__hip_bfloat162Li32ELi3ELi7EEvPKT_PKfPKiS7_S7_Pfiiiiiiiiiiiiii15HIP_vector_typeIjLj3EESA_.uses_flat_scratch, or(0, .L_ZL14no_device_codePKciS0_iS0_.uses_flat_scratch)
	.set _ZL13mul_mat_f_idsI15__hip_bfloat162Li32ELi3ELi7EEvPKT_PKfPKiS7_S7_Pfiiiiiiiiiiiiii15HIP_vector_typeIjLj3EESA_.has_dyn_sized_stack, or(0, .L_ZL14no_device_codePKciS0_iS0_.has_dyn_sized_stack)
	.set _ZL13mul_mat_f_idsI15__hip_bfloat162Li32ELi3ELi7EEvPKT_PKfPKiS7_S7_Pfiiiiiiiiiiiiii15HIP_vector_typeIjLj3EESA_.has_recursion, or(0, .L_ZL14no_device_codePKciS0_iS0_.has_recursion)
	.set _ZL13mul_mat_f_idsI15__hip_bfloat162Li32ELi3ELi7EEvPKT_PKfPKiS7_S7_Pfiiiiiiiiiiiiii15HIP_vector_typeIjLj3EESA_.has_indirect_call, or(0, .L_ZL14no_device_codePKciS0_iS0_.has_indirect_call)
	.section	.AMDGPU.csdata,"",@progbits
; Kernel info:
; codeLenInByte = 84
; TotalNumSgprs: 38
; NumVgprs: 38
; ScratchSize: 16
; MemoryBound: 0
; FloatMode: 240
; IeeeMode: 1
; LDSByteSize: 0 bytes/workgroup (compile time only)
; SGPRBlocks: 4
; VGPRBlocks: 9
; NumSGPRsForWavesPerEU: 38
; NumVGPRsForWavesPerEU: 38
; Occupancy: 6
; WaveLimiterHint : 1
; COMPUTE_PGM_RSRC2:SCRATCH_EN: 1
; COMPUTE_PGM_RSRC2:USER_SGPR: 6
; COMPUTE_PGM_RSRC2:TRAP_HANDLER: 0
; COMPUTE_PGM_RSRC2:TGID_X_EN: 1
; COMPUTE_PGM_RSRC2:TGID_Y_EN: 0
; COMPUTE_PGM_RSRC2:TGID_Z_EN: 0
; COMPUTE_PGM_RSRC2:TIDIG_COMP_CNT: 0
	.section	.text._ZL9mul_mat_fI15__hip_bfloat162Li32ELi3ELi7ELb1EEvPKT_PKfPKiPfiiiiiiiiiiiiiiii,"axG",@progbits,_ZL9mul_mat_fI15__hip_bfloat162Li32ELi3ELi7ELb1EEvPKT_PKfPKiPfiiiiiiiiiiiiiiii,comdat
	.globl	_ZL9mul_mat_fI15__hip_bfloat162Li32ELi3ELi7ELb1EEvPKT_PKfPKiPfiiiiiiiiiiiiiiii ; -- Begin function _ZL9mul_mat_fI15__hip_bfloat162Li32ELi3ELi7ELb1EEvPKT_PKfPKiPfiiiiiiiiiiiiiiii
	.p2align	8
	.type	_ZL9mul_mat_fI15__hip_bfloat162Li32ELi3ELi7ELb1EEvPKT_PKfPKiPfiiiiiiiiiiiiiiii,@function
_ZL9mul_mat_fI15__hip_bfloat162Li32ELi3ELi7ELb1EEvPKT_PKfPKiPfiiiiiiiiiiiiiiii: ; @_ZL9mul_mat_fI15__hip_bfloat162Li32ELi3ELi7ELb1EEvPKT_PKfPKiPfiiiiiiiiiiiiiiii
; %bb.0:
	s_add_u32 s0, s0, s7
	s_addc_u32 s1, s1, 0
	s_add_u32 s8, s4, 0x60
	s_addc_u32 s9, s5, 0
	s_getpc_b64 s[4:5]
	s_add_u32 s4, s4, __FUNCTION__._ZL9mul_mat_fIfLi32ELi3ELi1ELb1EEvPKT_PKfPKiPfiiiiiiiiiiiiiiii@rel32@lo+4
	s_addc_u32 s5, s5, __FUNCTION__._ZL9mul_mat_fIfLi32ELi3ELi1ELb1EEvPKT_PKfPKiPfiiiiiiiiiiiiiiii@rel32@hi+12
	s_getpc_b64 s[6:7]
	s_add_u32 s6, s6, _ZL14no_device_codePKciS0_iS0_@rel32@lo+4
	s_addc_u32 s7, s7, _ZL14no_device_codePKciS0_iS0_@rel32@hi+12
	v_mov_b32_e32 v0, 0x124
	v_mov_b32_e32 v1, s4
	;; [unrolled: 1-line block ×3, first 2 shown]
	s_mov_b32 s32, 0
	s_swappc_b64 s[30:31], s[6:7]
	.section	.rodata,"a",@progbits
	.p2align	6, 0x0
	.amdhsa_kernel _ZL9mul_mat_fI15__hip_bfloat162Li32ELi3ELi7ELb1EEvPKT_PKfPKiPfiiiiiiiiiiiiiiii
		.amdhsa_group_segment_fixed_size 0
		.amdhsa_private_segment_fixed_size 16
		.amdhsa_kernarg_size 352
		.amdhsa_user_sgpr_count 6
		.amdhsa_user_sgpr_private_segment_buffer 1
		.amdhsa_user_sgpr_dispatch_ptr 0
		.amdhsa_user_sgpr_queue_ptr 0
		.amdhsa_user_sgpr_kernarg_segment_ptr 1
		.amdhsa_user_sgpr_dispatch_id 0
		.amdhsa_user_sgpr_flat_scratch_init 0
		.amdhsa_user_sgpr_private_segment_size 0
		.amdhsa_uses_dynamic_stack 0
		.amdhsa_system_sgpr_private_segment_wavefront_offset 1
		.amdhsa_system_sgpr_workgroup_id_x 1
		.amdhsa_system_sgpr_workgroup_id_y 0
		.amdhsa_system_sgpr_workgroup_id_z 0
		.amdhsa_system_sgpr_workgroup_info 0
		.amdhsa_system_vgpr_workitem_id 0
		.amdhsa_next_free_vgpr 38
		.amdhsa_next_free_sgpr 34
		.amdhsa_reserve_vcc 1
		.amdhsa_reserve_flat_scratch 0
		.amdhsa_float_round_mode_32 0
		.amdhsa_float_round_mode_16_64 0
		.amdhsa_float_denorm_mode_32 3
		.amdhsa_float_denorm_mode_16_64 3
		.amdhsa_dx10_clamp 1
		.amdhsa_ieee_mode 1
		.amdhsa_fp16_overflow 0
		.amdhsa_exception_fp_ieee_invalid_op 0
		.amdhsa_exception_fp_denorm_src 0
		.amdhsa_exception_fp_ieee_div_zero 0
		.amdhsa_exception_fp_ieee_overflow 0
		.amdhsa_exception_fp_ieee_underflow 0
		.amdhsa_exception_fp_ieee_inexact 0
		.amdhsa_exception_int_div_zero 0
	.end_amdhsa_kernel
	.section	.text._ZL9mul_mat_fI15__hip_bfloat162Li32ELi3ELi7ELb1EEvPKT_PKfPKiPfiiiiiiiiiiiiiiii,"axG",@progbits,_ZL9mul_mat_fI15__hip_bfloat162Li32ELi3ELi7ELb1EEvPKT_PKfPKiPfiiiiiiiiiiiiiiii,comdat
.Lfunc_end70:
	.size	_ZL9mul_mat_fI15__hip_bfloat162Li32ELi3ELi7ELb1EEvPKT_PKfPKiPfiiiiiiiiiiiiiiii, .Lfunc_end70-_ZL9mul_mat_fI15__hip_bfloat162Li32ELi3ELi7ELb1EEvPKT_PKfPKiPfiiiiiiiiiiiiiiii
                                        ; -- End function
	.set _ZL9mul_mat_fI15__hip_bfloat162Li32ELi3ELi7ELb1EEvPKT_PKfPKiPfiiiiiiiiiiiiiiii.num_vgpr, max(3, .L_ZL14no_device_codePKciS0_iS0_.num_vgpr)
	.set _ZL9mul_mat_fI15__hip_bfloat162Li32ELi3ELi7ELb1EEvPKT_PKfPKiPfiiiiiiiiiiiiiiii.num_agpr, max(0, .L_ZL14no_device_codePKciS0_iS0_.num_agpr)
	.set _ZL9mul_mat_fI15__hip_bfloat162Li32ELi3ELi7ELb1EEvPKT_PKfPKiPfiiiiiiiiiiiiiiii.numbered_sgpr, max(33, .L_ZL14no_device_codePKciS0_iS0_.numbered_sgpr)
	.set _ZL9mul_mat_fI15__hip_bfloat162Li32ELi3ELi7ELb1EEvPKT_PKfPKiPfiiiiiiiiiiiiiiii.num_named_barrier, max(0, .L_ZL14no_device_codePKciS0_iS0_.num_named_barrier)
	.set _ZL9mul_mat_fI15__hip_bfloat162Li32ELi3ELi7ELb1EEvPKT_PKfPKiPfiiiiiiiiiiiiiiii.private_seg_size, 0+max(.L_ZL14no_device_codePKciS0_iS0_.private_seg_size)
	.set _ZL9mul_mat_fI15__hip_bfloat162Li32ELi3ELi7ELb1EEvPKT_PKfPKiPfiiiiiiiiiiiiiiii.uses_vcc, or(1, .L_ZL14no_device_codePKciS0_iS0_.uses_vcc)
	.set _ZL9mul_mat_fI15__hip_bfloat162Li32ELi3ELi7ELb1EEvPKT_PKfPKiPfiiiiiiiiiiiiiiii.uses_flat_scratch, or(0, .L_ZL14no_device_codePKciS0_iS0_.uses_flat_scratch)
	.set _ZL9mul_mat_fI15__hip_bfloat162Li32ELi3ELi7ELb1EEvPKT_PKfPKiPfiiiiiiiiiiiiiiii.has_dyn_sized_stack, or(0, .L_ZL14no_device_codePKciS0_iS0_.has_dyn_sized_stack)
	.set _ZL9mul_mat_fI15__hip_bfloat162Li32ELi3ELi7ELb1EEvPKT_PKfPKiPfiiiiiiiiiiiiiiii.has_recursion, or(0, .L_ZL14no_device_codePKciS0_iS0_.has_recursion)
	.set _ZL9mul_mat_fI15__hip_bfloat162Li32ELi3ELi7ELb1EEvPKT_PKfPKiPfiiiiiiiiiiiiiiii.has_indirect_call, or(0, .L_ZL14no_device_codePKciS0_iS0_.has_indirect_call)
	.section	.AMDGPU.csdata,"",@progbits
; Kernel info:
; codeLenInByte = 84
; TotalNumSgprs: 38
; NumVgprs: 38
; ScratchSize: 16
; MemoryBound: 0
; FloatMode: 240
; IeeeMode: 1
; LDSByteSize: 0 bytes/workgroup (compile time only)
; SGPRBlocks: 4
; VGPRBlocks: 9
; NumSGPRsForWavesPerEU: 38
; NumVGPRsForWavesPerEU: 38
; Occupancy: 6
; WaveLimiterHint : 1
; COMPUTE_PGM_RSRC2:SCRATCH_EN: 1
; COMPUTE_PGM_RSRC2:USER_SGPR: 6
; COMPUTE_PGM_RSRC2:TRAP_HANDLER: 0
; COMPUTE_PGM_RSRC2:TGID_X_EN: 1
; COMPUTE_PGM_RSRC2:TGID_Y_EN: 0
; COMPUTE_PGM_RSRC2:TGID_Z_EN: 0
; COMPUTE_PGM_RSRC2:TIDIG_COMP_CNT: 0
	.section	.text._ZL9mul_mat_fI15__hip_bfloat162Li32ELi3ELi7ELb0EEvPKT_PKfPKiPfiiiiiiiiiiiiiiii,"axG",@progbits,_ZL9mul_mat_fI15__hip_bfloat162Li32ELi3ELi7ELb0EEvPKT_PKfPKiPfiiiiiiiiiiiiiiii,comdat
	.globl	_ZL9mul_mat_fI15__hip_bfloat162Li32ELi3ELi7ELb0EEvPKT_PKfPKiPfiiiiiiiiiiiiiiii ; -- Begin function _ZL9mul_mat_fI15__hip_bfloat162Li32ELi3ELi7ELb0EEvPKT_PKfPKiPfiiiiiiiiiiiiiiii
	.p2align	8
	.type	_ZL9mul_mat_fI15__hip_bfloat162Li32ELi3ELi7ELb0EEvPKT_PKfPKiPfiiiiiiiiiiiiiiii,@function
_ZL9mul_mat_fI15__hip_bfloat162Li32ELi3ELi7ELb0EEvPKT_PKfPKiPfiiiiiiiiiiiiiiii: ; @_ZL9mul_mat_fI15__hip_bfloat162Li32ELi3ELi7ELb0EEvPKT_PKfPKiPfiiiiiiiiiiiiiiii
; %bb.0:
	s_add_u32 s0, s0, s7
	s_addc_u32 s1, s1, 0
	s_add_u32 s8, s4, 0x60
	s_addc_u32 s9, s5, 0
	s_getpc_b64 s[4:5]
	s_add_u32 s4, s4, __FUNCTION__._ZL9mul_mat_fIfLi32ELi3ELi1ELb1EEvPKT_PKfPKiPfiiiiiiiiiiiiiiii@rel32@lo+4
	s_addc_u32 s5, s5, __FUNCTION__._ZL9mul_mat_fIfLi32ELi3ELi1ELb1EEvPKT_PKfPKiPfiiiiiiiiiiiiiiii@rel32@hi+12
	s_getpc_b64 s[6:7]
	s_add_u32 s6, s6, _ZL14no_device_codePKciS0_iS0_@rel32@lo+4
	s_addc_u32 s7, s7, _ZL14no_device_codePKciS0_iS0_@rel32@hi+12
	v_mov_b32_e32 v0, 0x124
	v_mov_b32_e32 v1, s4
	;; [unrolled: 1-line block ×3, first 2 shown]
	s_mov_b32 s32, 0
	s_swappc_b64 s[30:31], s[6:7]
	.section	.rodata,"a",@progbits
	.p2align	6, 0x0
	.amdhsa_kernel _ZL9mul_mat_fI15__hip_bfloat162Li32ELi3ELi7ELb0EEvPKT_PKfPKiPfiiiiiiiiiiiiiiii
		.amdhsa_group_segment_fixed_size 0
		.amdhsa_private_segment_fixed_size 16
		.amdhsa_kernarg_size 352
		.amdhsa_user_sgpr_count 6
		.amdhsa_user_sgpr_private_segment_buffer 1
		.amdhsa_user_sgpr_dispatch_ptr 0
		.amdhsa_user_sgpr_queue_ptr 0
		.amdhsa_user_sgpr_kernarg_segment_ptr 1
		.amdhsa_user_sgpr_dispatch_id 0
		.amdhsa_user_sgpr_flat_scratch_init 0
		.amdhsa_user_sgpr_private_segment_size 0
		.amdhsa_uses_dynamic_stack 0
		.amdhsa_system_sgpr_private_segment_wavefront_offset 1
		.amdhsa_system_sgpr_workgroup_id_x 1
		.amdhsa_system_sgpr_workgroup_id_y 0
		.amdhsa_system_sgpr_workgroup_id_z 0
		.amdhsa_system_sgpr_workgroup_info 0
		.amdhsa_system_vgpr_workitem_id 0
		.amdhsa_next_free_vgpr 38
		.amdhsa_next_free_sgpr 34
		.amdhsa_reserve_vcc 1
		.amdhsa_reserve_flat_scratch 0
		.amdhsa_float_round_mode_32 0
		.amdhsa_float_round_mode_16_64 0
		.amdhsa_float_denorm_mode_32 3
		.amdhsa_float_denorm_mode_16_64 3
		.amdhsa_dx10_clamp 1
		.amdhsa_ieee_mode 1
		.amdhsa_fp16_overflow 0
		.amdhsa_exception_fp_ieee_invalid_op 0
		.amdhsa_exception_fp_denorm_src 0
		.amdhsa_exception_fp_ieee_div_zero 0
		.amdhsa_exception_fp_ieee_overflow 0
		.amdhsa_exception_fp_ieee_underflow 0
		.amdhsa_exception_fp_ieee_inexact 0
		.amdhsa_exception_int_div_zero 0
	.end_amdhsa_kernel
	.section	.text._ZL9mul_mat_fI15__hip_bfloat162Li32ELi3ELi7ELb0EEvPKT_PKfPKiPfiiiiiiiiiiiiiiii,"axG",@progbits,_ZL9mul_mat_fI15__hip_bfloat162Li32ELi3ELi7ELb0EEvPKT_PKfPKiPfiiiiiiiiiiiiiiii,comdat
.Lfunc_end71:
	.size	_ZL9mul_mat_fI15__hip_bfloat162Li32ELi3ELi7ELb0EEvPKT_PKfPKiPfiiiiiiiiiiiiiiii, .Lfunc_end71-_ZL9mul_mat_fI15__hip_bfloat162Li32ELi3ELi7ELb0EEvPKT_PKfPKiPfiiiiiiiiiiiiiiii
                                        ; -- End function
	.set _ZL9mul_mat_fI15__hip_bfloat162Li32ELi3ELi7ELb0EEvPKT_PKfPKiPfiiiiiiiiiiiiiiii.num_vgpr, max(3, .L_ZL14no_device_codePKciS0_iS0_.num_vgpr)
	.set _ZL9mul_mat_fI15__hip_bfloat162Li32ELi3ELi7ELb0EEvPKT_PKfPKiPfiiiiiiiiiiiiiiii.num_agpr, max(0, .L_ZL14no_device_codePKciS0_iS0_.num_agpr)
	.set _ZL9mul_mat_fI15__hip_bfloat162Li32ELi3ELi7ELb0EEvPKT_PKfPKiPfiiiiiiiiiiiiiiii.numbered_sgpr, max(33, .L_ZL14no_device_codePKciS0_iS0_.numbered_sgpr)
	.set _ZL9mul_mat_fI15__hip_bfloat162Li32ELi3ELi7ELb0EEvPKT_PKfPKiPfiiiiiiiiiiiiiiii.num_named_barrier, max(0, .L_ZL14no_device_codePKciS0_iS0_.num_named_barrier)
	.set _ZL9mul_mat_fI15__hip_bfloat162Li32ELi3ELi7ELb0EEvPKT_PKfPKiPfiiiiiiiiiiiiiiii.private_seg_size, 0+max(.L_ZL14no_device_codePKciS0_iS0_.private_seg_size)
	.set _ZL9mul_mat_fI15__hip_bfloat162Li32ELi3ELi7ELb0EEvPKT_PKfPKiPfiiiiiiiiiiiiiiii.uses_vcc, or(1, .L_ZL14no_device_codePKciS0_iS0_.uses_vcc)
	.set _ZL9mul_mat_fI15__hip_bfloat162Li32ELi3ELi7ELb0EEvPKT_PKfPKiPfiiiiiiiiiiiiiiii.uses_flat_scratch, or(0, .L_ZL14no_device_codePKciS0_iS0_.uses_flat_scratch)
	.set _ZL9mul_mat_fI15__hip_bfloat162Li32ELi3ELi7ELb0EEvPKT_PKfPKiPfiiiiiiiiiiiiiiii.has_dyn_sized_stack, or(0, .L_ZL14no_device_codePKciS0_iS0_.has_dyn_sized_stack)
	.set _ZL9mul_mat_fI15__hip_bfloat162Li32ELi3ELi7ELb0EEvPKT_PKfPKiPfiiiiiiiiiiiiiiii.has_recursion, or(0, .L_ZL14no_device_codePKciS0_iS0_.has_recursion)
	.set _ZL9mul_mat_fI15__hip_bfloat162Li32ELi3ELi7ELb0EEvPKT_PKfPKiPfiiiiiiiiiiiiiiii.has_indirect_call, or(0, .L_ZL14no_device_codePKciS0_iS0_.has_indirect_call)
	.section	.AMDGPU.csdata,"",@progbits
; Kernel info:
; codeLenInByte = 84
; TotalNumSgprs: 38
; NumVgprs: 38
; ScratchSize: 16
; MemoryBound: 0
; FloatMode: 240
; IeeeMode: 1
; LDSByteSize: 0 bytes/workgroup (compile time only)
; SGPRBlocks: 4
; VGPRBlocks: 9
; NumSGPRsForWavesPerEU: 38
; NumVGPRsForWavesPerEU: 38
; Occupancy: 6
; WaveLimiterHint : 1
; COMPUTE_PGM_RSRC2:SCRATCH_EN: 1
; COMPUTE_PGM_RSRC2:USER_SGPR: 6
; COMPUTE_PGM_RSRC2:TRAP_HANDLER: 0
; COMPUTE_PGM_RSRC2:TGID_X_EN: 1
; COMPUTE_PGM_RSRC2:TGID_Y_EN: 0
; COMPUTE_PGM_RSRC2:TGID_Z_EN: 0
; COMPUTE_PGM_RSRC2:TIDIG_COMP_CNT: 0
	.section	.text._ZL13mul_mat_f_idsI15__hip_bfloat162Li32ELi3ELi8EEvPKT_PKfPKiS7_S7_Pfiiiiiiiiiiiiii15HIP_vector_typeIjLj3EESA_,"axG",@progbits,_ZL13mul_mat_f_idsI15__hip_bfloat162Li32ELi3ELi8EEvPKT_PKfPKiS7_S7_Pfiiiiiiiiiiiiii15HIP_vector_typeIjLj3EESA_,comdat
	.globl	_ZL13mul_mat_f_idsI15__hip_bfloat162Li32ELi3ELi8EEvPKT_PKfPKiS7_S7_Pfiiiiiiiiiiiiii15HIP_vector_typeIjLj3EESA_ ; -- Begin function _ZL13mul_mat_f_idsI15__hip_bfloat162Li32ELi3ELi8EEvPKT_PKfPKiS7_S7_Pfiiiiiiiiiiiiii15HIP_vector_typeIjLj3EESA_
	.p2align	8
	.type	_ZL13mul_mat_f_idsI15__hip_bfloat162Li32ELi3ELi8EEvPKT_PKfPKiS7_S7_Pfiiiiiiiiiiiiii15HIP_vector_typeIjLj3EESA_,@function
_ZL13mul_mat_f_idsI15__hip_bfloat162Li32ELi3ELi8EEvPKT_PKfPKiS7_S7_Pfiiiiiiiiiiiiii15HIP_vector_typeIjLj3EESA_: ; @_ZL13mul_mat_f_idsI15__hip_bfloat162Li32ELi3ELi8EEvPKT_PKfPKiS7_S7_Pfiiiiiiiiiiiiii15HIP_vector_typeIjLj3EESA_
; %bb.0:
	s_add_u32 s0, s0, s7
	s_addc_u32 s1, s1, 0
	s_add_u32 s8, s4, 0x80
	s_addc_u32 s9, s5, 0
	s_getpc_b64 s[4:5]
	s_add_u32 s4, s4, __FUNCTION__._ZL13mul_mat_f_idsIfLi32ELi3ELi1EEvPKT_PKfPKiS6_S6_Pfiiiiiiiiiiiiii15HIP_vector_typeIjLj3EES9_@rel32@lo+4
	s_addc_u32 s5, s5, __FUNCTION__._ZL13mul_mat_f_idsIfLi32ELi3ELi1EEvPKT_PKfPKiS6_S6_Pfiiiiiiiiiiiiii15HIP_vector_typeIjLj3EES9_@rel32@hi+12
	s_getpc_b64 s[6:7]
	s_add_u32 s6, s6, _ZL14no_device_codePKciS0_iS0_@rel32@lo+4
	s_addc_u32 s7, s7, _ZL14no_device_codePKciS0_iS0_@rel32@hi+12
	v_mov_b32_e32 v0, 0x238
	v_mov_b32_e32 v1, s4
	;; [unrolled: 1-line block ×3, first 2 shown]
	s_mov_b32 s32, 0
	s_swappc_b64 s[30:31], s[6:7]
	.section	.rodata,"a",@progbits
	.p2align	6, 0x0
	.amdhsa_kernel _ZL13mul_mat_f_idsI15__hip_bfloat162Li32ELi3ELi8EEvPKT_PKfPKiS7_S7_Pfiiiiiiiiiiiiii15HIP_vector_typeIjLj3EESA_
		.amdhsa_group_segment_fixed_size 0
		.amdhsa_private_segment_fixed_size 16
		.amdhsa_kernarg_size 384
		.amdhsa_user_sgpr_count 6
		.amdhsa_user_sgpr_private_segment_buffer 1
		.amdhsa_user_sgpr_dispatch_ptr 0
		.amdhsa_user_sgpr_queue_ptr 0
		.amdhsa_user_sgpr_kernarg_segment_ptr 1
		.amdhsa_user_sgpr_dispatch_id 0
		.amdhsa_user_sgpr_flat_scratch_init 0
		.amdhsa_user_sgpr_private_segment_size 0
		.amdhsa_uses_dynamic_stack 0
		.amdhsa_system_sgpr_private_segment_wavefront_offset 1
		.amdhsa_system_sgpr_workgroup_id_x 1
		.amdhsa_system_sgpr_workgroup_id_y 0
		.amdhsa_system_sgpr_workgroup_id_z 0
		.amdhsa_system_sgpr_workgroup_info 0
		.amdhsa_system_vgpr_workitem_id 0
		.amdhsa_next_free_vgpr 38
		.amdhsa_next_free_sgpr 34
		.amdhsa_reserve_vcc 1
		.amdhsa_reserve_flat_scratch 0
		.amdhsa_float_round_mode_32 0
		.amdhsa_float_round_mode_16_64 0
		.amdhsa_float_denorm_mode_32 3
		.amdhsa_float_denorm_mode_16_64 3
		.amdhsa_dx10_clamp 1
		.amdhsa_ieee_mode 1
		.amdhsa_fp16_overflow 0
		.amdhsa_exception_fp_ieee_invalid_op 0
		.amdhsa_exception_fp_denorm_src 0
		.amdhsa_exception_fp_ieee_div_zero 0
		.amdhsa_exception_fp_ieee_overflow 0
		.amdhsa_exception_fp_ieee_underflow 0
		.amdhsa_exception_fp_ieee_inexact 0
		.amdhsa_exception_int_div_zero 0
	.end_amdhsa_kernel
	.section	.text._ZL13mul_mat_f_idsI15__hip_bfloat162Li32ELi3ELi8EEvPKT_PKfPKiS7_S7_Pfiiiiiiiiiiiiii15HIP_vector_typeIjLj3EESA_,"axG",@progbits,_ZL13mul_mat_f_idsI15__hip_bfloat162Li32ELi3ELi8EEvPKT_PKfPKiS7_S7_Pfiiiiiiiiiiiiii15HIP_vector_typeIjLj3EESA_,comdat
.Lfunc_end72:
	.size	_ZL13mul_mat_f_idsI15__hip_bfloat162Li32ELi3ELi8EEvPKT_PKfPKiS7_S7_Pfiiiiiiiiiiiiii15HIP_vector_typeIjLj3EESA_, .Lfunc_end72-_ZL13mul_mat_f_idsI15__hip_bfloat162Li32ELi3ELi8EEvPKT_PKfPKiS7_S7_Pfiiiiiiiiiiiiii15HIP_vector_typeIjLj3EESA_
                                        ; -- End function
	.set _ZL13mul_mat_f_idsI15__hip_bfloat162Li32ELi3ELi8EEvPKT_PKfPKiS7_S7_Pfiiiiiiiiiiiiii15HIP_vector_typeIjLj3EESA_.num_vgpr, max(3, .L_ZL14no_device_codePKciS0_iS0_.num_vgpr)
	.set _ZL13mul_mat_f_idsI15__hip_bfloat162Li32ELi3ELi8EEvPKT_PKfPKiS7_S7_Pfiiiiiiiiiiiiii15HIP_vector_typeIjLj3EESA_.num_agpr, max(0, .L_ZL14no_device_codePKciS0_iS0_.num_agpr)
	.set _ZL13mul_mat_f_idsI15__hip_bfloat162Li32ELi3ELi8EEvPKT_PKfPKiS7_S7_Pfiiiiiiiiiiiiii15HIP_vector_typeIjLj3EESA_.numbered_sgpr, max(33, .L_ZL14no_device_codePKciS0_iS0_.numbered_sgpr)
	.set _ZL13mul_mat_f_idsI15__hip_bfloat162Li32ELi3ELi8EEvPKT_PKfPKiS7_S7_Pfiiiiiiiiiiiiii15HIP_vector_typeIjLj3EESA_.num_named_barrier, max(0, .L_ZL14no_device_codePKciS0_iS0_.num_named_barrier)
	.set _ZL13mul_mat_f_idsI15__hip_bfloat162Li32ELi3ELi8EEvPKT_PKfPKiS7_S7_Pfiiiiiiiiiiiiii15HIP_vector_typeIjLj3EESA_.private_seg_size, 0+max(.L_ZL14no_device_codePKciS0_iS0_.private_seg_size)
	.set _ZL13mul_mat_f_idsI15__hip_bfloat162Li32ELi3ELi8EEvPKT_PKfPKiS7_S7_Pfiiiiiiiiiiiiii15HIP_vector_typeIjLj3EESA_.uses_vcc, or(1, .L_ZL14no_device_codePKciS0_iS0_.uses_vcc)
	.set _ZL13mul_mat_f_idsI15__hip_bfloat162Li32ELi3ELi8EEvPKT_PKfPKiS7_S7_Pfiiiiiiiiiiiiii15HIP_vector_typeIjLj3EESA_.uses_flat_scratch, or(0, .L_ZL14no_device_codePKciS0_iS0_.uses_flat_scratch)
	.set _ZL13mul_mat_f_idsI15__hip_bfloat162Li32ELi3ELi8EEvPKT_PKfPKiS7_S7_Pfiiiiiiiiiiiiii15HIP_vector_typeIjLj3EESA_.has_dyn_sized_stack, or(0, .L_ZL14no_device_codePKciS0_iS0_.has_dyn_sized_stack)
	.set _ZL13mul_mat_f_idsI15__hip_bfloat162Li32ELi3ELi8EEvPKT_PKfPKiS7_S7_Pfiiiiiiiiiiiiii15HIP_vector_typeIjLj3EESA_.has_recursion, or(0, .L_ZL14no_device_codePKciS0_iS0_.has_recursion)
	.set _ZL13mul_mat_f_idsI15__hip_bfloat162Li32ELi3ELi8EEvPKT_PKfPKiS7_S7_Pfiiiiiiiiiiiiii15HIP_vector_typeIjLj3EESA_.has_indirect_call, or(0, .L_ZL14no_device_codePKciS0_iS0_.has_indirect_call)
	.section	.AMDGPU.csdata,"",@progbits
; Kernel info:
; codeLenInByte = 84
; TotalNumSgprs: 38
; NumVgprs: 38
; ScratchSize: 16
; MemoryBound: 0
; FloatMode: 240
; IeeeMode: 1
; LDSByteSize: 0 bytes/workgroup (compile time only)
; SGPRBlocks: 4
; VGPRBlocks: 9
; NumSGPRsForWavesPerEU: 38
; NumVGPRsForWavesPerEU: 38
; Occupancy: 6
; WaveLimiterHint : 1
; COMPUTE_PGM_RSRC2:SCRATCH_EN: 1
; COMPUTE_PGM_RSRC2:USER_SGPR: 6
; COMPUTE_PGM_RSRC2:TRAP_HANDLER: 0
; COMPUTE_PGM_RSRC2:TGID_X_EN: 1
; COMPUTE_PGM_RSRC2:TGID_Y_EN: 0
; COMPUTE_PGM_RSRC2:TGID_Z_EN: 0
; COMPUTE_PGM_RSRC2:TIDIG_COMP_CNT: 0
	.section	.text._ZL9mul_mat_fI15__hip_bfloat162Li32ELi3ELi8ELb1EEvPKT_PKfPKiPfiiiiiiiiiiiiiiii,"axG",@progbits,_ZL9mul_mat_fI15__hip_bfloat162Li32ELi3ELi8ELb1EEvPKT_PKfPKiPfiiiiiiiiiiiiiiii,comdat
	.globl	_ZL9mul_mat_fI15__hip_bfloat162Li32ELi3ELi8ELb1EEvPKT_PKfPKiPfiiiiiiiiiiiiiiii ; -- Begin function _ZL9mul_mat_fI15__hip_bfloat162Li32ELi3ELi8ELb1EEvPKT_PKfPKiPfiiiiiiiiiiiiiiii
	.p2align	8
	.type	_ZL9mul_mat_fI15__hip_bfloat162Li32ELi3ELi8ELb1EEvPKT_PKfPKiPfiiiiiiiiiiiiiiii,@function
_ZL9mul_mat_fI15__hip_bfloat162Li32ELi3ELi8ELb1EEvPKT_PKfPKiPfiiiiiiiiiiiiiiii: ; @_ZL9mul_mat_fI15__hip_bfloat162Li32ELi3ELi8ELb1EEvPKT_PKfPKiPfiiiiiiiiiiiiiiii
; %bb.0:
	s_add_u32 s0, s0, s7
	s_addc_u32 s1, s1, 0
	s_add_u32 s8, s4, 0x60
	s_addc_u32 s9, s5, 0
	s_getpc_b64 s[4:5]
	s_add_u32 s4, s4, __FUNCTION__._ZL9mul_mat_fIfLi32ELi3ELi1ELb1EEvPKT_PKfPKiPfiiiiiiiiiiiiiiii@rel32@lo+4
	s_addc_u32 s5, s5, __FUNCTION__._ZL9mul_mat_fIfLi32ELi3ELi1ELb1EEvPKT_PKfPKiPfiiiiiiiiiiiiiiii@rel32@hi+12
	s_getpc_b64 s[6:7]
	s_add_u32 s6, s6, _ZL14no_device_codePKciS0_iS0_@rel32@lo+4
	s_addc_u32 s7, s7, _ZL14no_device_codePKciS0_iS0_@rel32@hi+12
	v_mov_b32_e32 v0, 0x124
	v_mov_b32_e32 v1, s4
	;; [unrolled: 1-line block ×3, first 2 shown]
	s_mov_b32 s32, 0
	s_swappc_b64 s[30:31], s[6:7]
	.section	.rodata,"a",@progbits
	.p2align	6, 0x0
	.amdhsa_kernel _ZL9mul_mat_fI15__hip_bfloat162Li32ELi3ELi8ELb1EEvPKT_PKfPKiPfiiiiiiiiiiiiiiii
		.amdhsa_group_segment_fixed_size 0
		.amdhsa_private_segment_fixed_size 16
		.amdhsa_kernarg_size 352
		.amdhsa_user_sgpr_count 6
		.amdhsa_user_sgpr_private_segment_buffer 1
		.amdhsa_user_sgpr_dispatch_ptr 0
		.amdhsa_user_sgpr_queue_ptr 0
		.amdhsa_user_sgpr_kernarg_segment_ptr 1
		.amdhsa_user_sgpr_dispatch_id 0
		.amdhsa_user_sgpr_flat_scratch_init 0
		.amdhsa_user_sgpr_private_segment_size 0
		.amdhsa_uses_dynamic_stack 0
		.amdhsa_system_sgpr_private_segment_wavefront_offset 1
		.amdhsa_system_sgpr_workgroup_id_x 1
		.amdhsa_system_sgpr_workgroup_id_y 0
		.amdhsa_system_sgpr_workgroup_id_z 0
		.amdhsa_system_sgpr_workgroup_info 0
		.amdhsa_system_vgpr_workitem_id 0
		.amdhsa_next_free_vgpr 38
		.amdhsa_next_free_sgpr 34
		.amdhsa_reserve_vcc 1
		.amdhsa_reserve_flat_scratch 0
		.amdhsa_float_round_mode_32 0
		.amdhsa_float_round_mode_16_64 0
		.amdhsa_float_denorm_mode_32 3
		.amdhsa_float_denorm_mode_16_64 3
		.amdhsa_dx10_clamp 1
		.amdhsa_ieee_mode 1
		.amdhsa_fp16_overflow 0
		.amdhsa_exception_fp_ieee_invalid_op 0
		.amdhsa_exception_fp_denorm_src 0
		.amdhsa_exception_fp_ieee_div_zero 0
		.amdhsa_exception_fp_ieee_overflow 0
		.amdhsa_exception_fp_ieee_underflow 0
		.amdhsa_exception_fp_ieee_inexact 0
		.amdhsa_exception_int_div_zero 0
	.end_amdhsa_kernel
	.section	.text._ZL9mul_mat_fI15__hip_bfloat162Li32ELi3ELi8ELb1EEvPKT_PKfPKiPfiiiiiiiiiiiiiiii,"axG",@progbits,_ZL9mul_mat_fI15__hip_bfloat162Li32ELi3ELi8ELb1EEvPKT_PKfPKiPfiiiiiiiiiiiiiiii,comdat
.Lfunc_end73:
	.size	_ZL9mul_mat_fI15__hip_bfloat162Li32ELi3ELi8ELb1EEvPKT_PKfPKiPfiiiiiiiiiiiiiiii, .Lfunc_end73-_ZL9mul_mat_fI15__hip_bfloat162Li32ELi3ELi8ELb1EEvPKT_PKfPKiPfiiiiiiiiiiiiiiii
                                        ; -- End function
	.set _ZL9mul_mat_fI15__hip_bfloat162Li32ELi3ELi8ELb1EEvPKT_PKfPKiPfiiiiiiiiiiiiiiii.num_vgpr, max(3, .L_ZL14no_device_codePKciS0_iS0_.num_vgpr)
	.set _ZL9mul_mat_fI15__hip_bfloat162Li32ELi3ELi8ELb1EEvPKT_PKfPKiPfiiiiiiiiiiiiiiii.num_agpr, max(0, .L_ZL14no_device_codePKciS0_iS0_.num_agpr)
	.set _ZL9mul_mat_fI15__hip_bfloat162Li32ELi3ELi8ELb1EEvPKT_PKfPKiPfiiiiiiiiiiiiiiii.numbered_sgpr, max(33, .L_ZL14no_device_codePKciS0_iS0_.numbered_sgpr)
	.set _ZL9mul_mat_fI15__hip_bfloat162Li32ELi3ELi8ELb1EEvPKT_PKfPKiPfiiiiiiiiiiiiiiii.num_named_barrier, max(0, .L_ZL14no_device_codePKciS0_iS0_.num_named_barrier)
	.set _ZL9mul_mat_fI15__hip_bfloat162Li32ELi3ELi8ELb1EEvPKT_PKfPKiPfiiiiiiiiiiiiiiii.private_seg_size, 0+max(.L_ZL14no_device_codePKciS0_iS0_.private_seg_size)
	.set _ZL9mul_mat_fI15__hip_bfloat162Li32ELi3ELi8ELb1EEvPKT_PKfPKiPfiiiiiiiiiiiiiiii.uses_vcc, or(1, .L_ZL14no_device_codePKciS0_iS0_.uses_vcc)
	.set _ZL9mul_mat_fI15__hip_bfloat162Li32ELi3ELi8ELb1EEvPKT_PKfPKiPfiiiiiiiiiiiiiiii.uses_flat_scratch, or(0, .L_ZL14no_device_codePKciS0_iS0_.uses_flat_scratch)
	.set _ZL9mul_mat_fI15__hip_bfloat162Li32ELi3ELi8ELb1EEvPKT_PKfPKiPfiiiiiiiiiiiiiiii.has_dyn_sized_stack, or(0, .L_ZL14no_device_codePKciS0_iS0_.has_dyn_sized_stack)
	.set _ZL9mul_mat_fI15__hip_bfloat162Li32ELi3ELi8ELb1EEvPKT_PKfPKiPfiiiiiiiiiiiiiiii.has_recursion, or(0, .L_ZL14no_device_codePKciS0_iS0_.has_recursion)
	.set _ZL9mul_mat_fI15__hip_bfloat162Li32ELi3ELi8ELb1EEvPKT_PKfPKiPfiiiiiiiiiiiiiiii.has_indirect_call, or(0, .L_ZL14no_device_codePKciS0_iS0_.has_indirect_call)
	.section	.AMDGPU.csdata,"",@progbits
; Kernel info:
; codeLenInByte = 84
; TotalNumSgprs: 38
; NumVgprs: 38
; ScratchSize: 16
; MemoryBound: 0
; FloatMode: 240
; IeeeMode: 1
; LDSByteSize: 0 bytes/workgroup (compile time only)
; SGPRBlocks: 4
; VGPRBlocks: 9
; NumSGPRsForWavesPerEU: 38
; NumVGPRsForWavesPerEU: 38
; Occupancy: 6
; WaveLimiterHint : 1
; COMPUTE_PGM_RSRC2:SCRATCH_EN: 1
; COMPUTE_PGM_RSRC2:USER_SGPR: 6
; COMPUTE_PGM_RSRC2:TRAP_HANDLER: 0
; COMPUTE_PGM_RSRC2:TGID_X_EN: 1
; COMPUTE_PGM_RSRC2:TGID_Y_EN: 0
; COMPUTE_PGM_RSRC2:TGID_Z_EN: 0
; COMPUTE_PGM_RSRC2:TIDIG_COMP_CNT: 0
	.section	.text._ZL9mul_mat_fI15__hip_bfloat162Li32ELi3ELi8ELb0EEvPKT_PKfPKiPfiiiiiiiiiiiiiiii,"axG",@progbits,_ZL9mul_mat_fI15__hip_bfloat162Li32ELi3ELi8ELb0EEvPKT_PKfPKiPfiiiiiiiiiiiiiiii,comdat
	.globl	_ZL9mul_mat_fI15__hip_bfloat162Li32ELi3ELi8ELb0EEvPKT_PKfPKiPfiiiiiiiiiiiiiiii ; -- Begin function _ZL9mul_mat_fI15__hip_bfloat162Li32ELi3ELi8ELb0EEvPKT_PKfPKiPfiiiiiiiiiiiiiiii
	.p2align	8
	.type	_ZL9mul_mat_fI15__hip_bfloat162Li32ELi3ELi8ELb0EEvPKT_PKfPKiPfiiiiiiiiiiiiiiii,@function
_ZL9mul_mat_fI15__hip_bfloat162Li32ELi3ELi8ELb0EEvPKT_PKfPKiPfiiiiiiiiiiiiiiii: ; @_ZL9mul_mat_fI15__hip_bfloat162Li32ELi3ELi8ELb0EEvPKT_PKfPKiPfiiiiiiiiiiiiiiii
; %bb.0:
	s_add_u32 s0, s0, s7
	s_addc_u32 s1, s1, 0
	s_add_u32 s8, s4, 0x60
	s_addc_u32 s9, s5, 0
	s_getpc_b64 s[4:5]
	s_add_u32 s4, s4, __FUNCTION__._ZL9mul_mat_fIfLi32ELi3ELi1ELb1EEvPKT_PKfPKiPfiiiiiiiiiiiiiiii@rel32@lo+4
	s_addc_u32 s5, s5, __FUNCTION__._ZL9mul_mat_fIfLi32ELi3ELi1ELb1EEvPKT_PKfPKiPfiiiiiiiiiiiiiiii@rel32@hi+12
	s_getpc_b64 s[6:7]
	s_add_u32 s6, s6, _ZL14no_device_codePKciS0_iS0_@rel32@lo+4
	s_addc_u32 s7, s7, _ZL14no_device_codePKciS0_iS0_@rel32@hi+12
	v_mov_b32_e32 v0, 0x124
	v_mov_b32_e32 v1, s4
	;; [unrolled: 1-line block ×3, first 2 shown]
	s_mov_b32 s32, 0
	s_swappc_b64 s[30:31], s[6:7]
	.section	.rodata,"a",@progbits
	.p2align	6, 0x0
	.amdhsa_kernel _ZL9mul_mat_fI15__hip_bfloat162Li32ELi3ELi8ELb0EEvPKT_PKfPKiPfiiiiiiiiiiiiiiii
		.amdhsa_group_segment_fixed_size 0
		.amdhsa_private_segment_fixed_size 16
		.amdhsa_kernarg_size 352
		.amdhsa_user_sgpr_count 6
		.amdhsa_user_sgpr_private_segment_buffer 1
		.amdhsa_user_sgpr_dispatch_ptr 0
		.amdhsa_user_sgpr_queue_ptr 0
		.amdhsa_user_sgpr_kernarg_segment_ptr 1
		.amdhsa_user_sgpr_dispatch_id 0
		.amdhsa_user_sgpr_flat_scratch_init 0
		.amdhsa_user_sgpr_private_segment_size 0
		.amdhsa_uses_dynamic_stack 0
		.amdhsa_system_sgpr_private_segment_wavefront_offset 1
		.amdhsa_system_sgpr_workgroup_id_x 1
		.amdhsa_system_sgpr_workgroup_id_y 0
		.amdhsa_system_sgpr_workgroup_id_z 0
		.amdhsa_system_sgpr_workgroup_info 0
		.amdhsa_system_vgpr_workitem_id 0
		.amdhsa_next_free_vgpr 38
		.amdhsa_next_free_sgpr 34
		.amdhsa_reserve_vcc 1
		.amdhsa_reserve_flat_scratch 0
		.amdhsa_float_round_mode_32 0
		.amdhsa_float_round_mode_16_64 0
		.amdhsa_float_denorm_mode_32 3
		.amdhsa_float_denorm_mode_16_64 3
		.amdhsa_dx10_clamp 1
		.amdhsa_ieee_mode 1
		.amdhsa_fp16_overflow 0
		.amdhsa_exception_fp_ieee_invalid_op 0
		.amdhsa_exception_fp_denorm_src 0
		.amdhsa_exception_fp_ieee_div_zero 0
		.amdhsa_exception_fp_ieee_overflow 0
		.amdhsa_exception_fp_ieee_underflow 0
		.amdhsa_exception_fp_ieee_inexact 0
		.amdhsa_exception_int_div_zero 0
	.end_amdhsa_kernel
	.section	.text._ZL9mul_mat_fI15__hip_bfloat162Li32ELi3ELi8ELb0EEvPKT_PKfPKiPfiiiiiiiiiiiiiiii,"axG",@progbits,_ZL9mul_mat_fI15__hip_bfloat162Li32ELi3ELi8ELb0EEvPKT_PKfPKiPfiiiiiiiiiiiiiiii,comdat
.Lfunc_end74:
	.size	_ZL9mul_mat_fI15__hip_bfloat162Li32ELi3ELi8ELb0EEvPKT_PKfPKiPfiiiiiiiiiiiiiiii, .Lfunc_end74-_ZL9mul_mat_fI15__hip_bfloat162Li32ELi3ELi8ELb0EEvPKT_PKfPKiPfiiiiiiiiiiiiiiii
                                        ; -- End function
	.set _ZL9mul_mat_fI15__hip_bfloat162Li32ELi3ELi8ELb0EEvPKT_PKfPKiPfiiiiiiiiiiiiiiii.num_vgpr, max(3, .L_ZL14no_device_codePKciS0_iS0_.num_vgpr)
	.set _ZL9mul_mat_fI15__hip_bfloat162Li32ELi3ELi8ELb0EEvPKT_PKfPKiPfiiiiiiiiiiiiiiii.num_agpr, max(0, .L_ZL14no_device_codePKciS0_iS0_.num_agpr)
	.set _ZL9mul_mat_fI15__hip_bfloat162Li32ELi3ELi8ELb0EEvPKT_PKfPKiPfiiiiiiiiiiiiiiii.numbered_sgpr, max(33, .L_ZL14no_device_codePKciS0_iS0_.numbered_sgpr)
	.set _ZL9mul_mat_fI15__hip_bfloat162Li32ELi3ELi8ELb0EEvPKT_PKfPKiPfiiiiiiiiiiiiiiii.num_named_barrier, max(0, .L_ZL14no_device_codePKciS0_iS0_.num_named_barrier)
	.set _ZL9mul_mat_fI15__hip_bfloat162Li32ELi3ELi8ELb0EEvPKT_PKfPKiPfiiiiiiiiiiiiiiii.private_seg_size, 0+max(.L_ZL14no_device_codePKciS0_iS0_.private_seg_size)
	.set _ZL9mul_mat_fI15__hip_bfloat162Li32ELi3ELi8ELb0EEvPKT_PKfPKiPfiiiiiiiiiiiiiiii.uses_vcc, or(1, .L_ZL14no_device_codePKciS0_iS0_.uses_vcc)
	.set _ZL9mul_mat_fI15__hip_bfloat162Li32ELi3ELi8ELb0EEvPKT_PKfPKiPfiiiiiiiiiiiiiiii.uses_flat_scratch, or(0, .L_ZL14no_device_codePKciS0_iS0_.uses_flat_scratch)
	.set _ZL9mul_mat_fI15__hip_bfloat162Li32ELi3ELi8ELb0EEvPKT_PKfPKiPfiiiiiiiiiiiiiiii.has_dyn_sized_stack, or(0, .L_ZL14no_device_codePKciS0_iS0_.has_dyn_sized_stack)
	.set _ZL9mul_mat_fI15__hip_bfloat162Li32ELi3ELi8ELb0EEvPKT_PKfPKiPfiiiiiiiiiiiiiiii.has_recursion, or(0, .L_ZL14no_device_codePKciS0_iS0_.has_recursion)
	.set _ZL9mul_mat_fI15__hip_bfloat162Li32ELi3ELi8ELb0EEvPKT_PKfPKiPfiiiiiiiiiiiiiiii.has_indirect_call, or(0, .L_ZL14no_device_codePKciS0_iS0_.has_indirect_call)
	.section	.AMDGPU.csdata,"",@progbits
; Kernel info:
; codeLenInByte = 84
; TotalNumSgprs: 38
; NumVgprs: 38
; ScratchSize: 16
; MemoryBound: 0
; FloatMode: 240
; IeeeMode: 1
; LDSByteSize: 0 bytes/workgroup (compile time only)
; SGPRBlocks: 4
; VGPRBlocks: 9
; NumSGPRsForWavesPerEU: 38
; NumVGPRsForWavesPerEU: 38
; Occupancy: 6
; WaveLimiterHint : 1
; COMPUTE_PGM_RSRC2:SCRATCH_EN: 1
; COMPUTE_PGM_RSRC2:USER_SGPR: 6
; COMPUTE_PGM_RSRC2:TRAP_HANDLER: 0
; COMPUTE_PGM_RSRC2:TGID_X_EN: 1
; COMPUTE_PGM_RSRC2:TGID_Y_EN: 0
; COMPUTE_PGM_RSRC2:TGID_Z_EN: 0
; COMPUTE_PGM_RSRC2:TIDIG_COMP_CNT: 0
	.section	.text._ZL13mul_mat_f_idsIfLi64ELi3ELi1EEvPKT_PKfPKiS6_S6_Pfiiiiiiiiiiiiii15HIP_vector_typeIjLj3EES9_,"axG",@progbits,_ZL13mul_mat_f_idsIfLi64ELi3ELi1EEvPKT_PKfPKiS6_S6_Pfiiiiiiiiiiiiii15HIP_vector_typeIjLj3EES9_,comdat
	.globl	_ZL13mul_mat_f_idsIfLi64ELi3ELi1EEvPKT_PKfPKiS6_S6_Pfiiiiiiiiiiiiii15HIP_vector_typeIjLj3EES9_ ; -- Begin function _ZL13mul_mat_f_idsIfLi64ELi3ELi1EEvPKT_PKfPKiS6_S6_Pfiiiiiiiiiiiiii15HIP_vector_typeIjLj3EES9_
	.p2align	8
	.type	_ZL13mul_mat_f_idsIfLi64ELi3ELi1EEvPKT_PKfPKiS6_S6_Pfiiiiiiiiiiiiii15HIP_vector_typeIjLj3EES9_,@function
_ZL13mul_mat_f_idsIfLi64ELi3ELi1EEvPKT_PKfPKiS6_S6_Pfiiiiiiiiiiiiii15HIP_vector_typeIjLj3EES9_: ; @_ZL13mul_mat_f_idsIfLi64ELi3ELi1EEvPKT_PKfPKiS6_S6_Pfiiiiiiiiiiiiii15HIP_vector_typeIjLj3EES9_
; %bb.0:
	s_add_u32 s0, s0, s7
	s_addc_u32 s1, s1, 0
	s_add_u32 s8, s4, 0x80
	s_addc_u32 s9, s5, 0
	s_getpc_b64 s[4:5]
	s_add_u32 s4, s4, __FUNCTION__._ZL13mul_mat_f_idsIfLi32ELi3ELi1EEvPKT_PKfPKiS6_S6_Pfiiiiiiiiiiiiii15HIP_vector_typeIjLj3EES9_@rel32@lo+4
	s_addc_u32 s5, s5, __FUNCTION__._ZL13mul_mat_f_idsIfLi32ELi3ELi1EEvPKT_PKfPKiS6_S6_Pfiiiiiiiiiiiiii15HIP_vector_typeIjLj3EES9_@rel32@hi+12
	s_getpc_b64 s[6:7]
	s_add_u32 s6, s6, _ZL14no_device_codePKciS0_iS0_@rel32@lo+4
	s_addc_u32 s7, s7, _ZL14no_device_codePKciS0_iS0_@rel32@hi+12
	v_mov_b32_e32 v0, 0x238
	v_mov_b32_e32 v1, s4
	;; [unrolled: 1-line block ×3, first 2 shown]
	s_mov_b32 s32, 0
	s_swappc_b64 s[30:31], s[6:7]
	.section	.rodata,"a",@progbits
	.p2align	6, 0x0
	.amdhsa_kernel _ZL13mul_mat_f_idsIfLi64ELi3ELi1EEvPKT_PKfPKiS6_S6_Pfiiiiiiiiiiiiii15HIP_vector_typeIjLj3EES9_
		.amdhsa_group_segment_fixed_size 0
		.amdhsa_private_segment_fixed_size 16
		.amdhsa_kernarg_size 384
		.amdhsa_user_sgpr_count 6
		.amdhsa_user_sgpr_private_segment_buffer 1
		.amdhsa_user_sgpr_dispatch_ptr 0
		.amdhsa_user_sgpr_queue_ptr 0
		.amdhsa_user_sgpr_kernarg_segment_ptr 1
		.amdhsa_user_sgpr_dispatch_id 0
		.amdhsa_user_sgpr_flat_scratch_init 0
		.amdhsa_user_sgpr_private_segment_size 0
		.amdhsa_uses_dynamic_stack 0
		.amdhsa_system_sgpr_private_segment_wavefront_offset 1
		.amdhsa_system_sgpr_workgroup_id_x 1
		.amdhsa_system_sgpr_workgroup_id_y 0
		.amdhsa_system_sgpr_workgroup_id_z 0
		.amdhsa_system_sgpr_workgroup_info 0
		.amdhsa_system_vgpr_workitem_id 0
		.amdhsa_next_free_vgpr 38
		.amdhsa_next_free_sgpr 34
		.amdhsa_reserve_vcc 1
		.amdhsa_reserve_flat_scratch 0
		.amdhsa_float_round_mode_32 0
		.amdhsa_float_round_mode_16_64 0
		.amdhsa_float_denorm_mode_32 3
		.amdhsa_float_denorm_mode_16_64 3
		.amdhsa_dx10_clamp 1
		.amdhsa_ieee_mode 1
		.amdhsa_fp16_overflow 0
		.amdhsa_exception_fp_ieee_invalid_op 0
		.amdhsa_exception_fp_denorm_src 0
		.amdhsa_exception_fp_ieee_div_zero 0
		.amdhsa_exception_fp_ieee_overflow 0
		.amdhsa_exception_fp_ieee_underflow 0
		.amdhsa_exception_fp_ieee_inexact 0
		.amdhsa_exception_int_div_zero 0
	.end_amdhsa_kernel
	.section	.text._ZL13mul_mat_f_idsIfLi64ELi3ELi1EEvPKT_PKfPKiS6_S6_Pfiiiiiiiiiiiiii15HIP_vector_typeIjLj3EES9_,"axG",@progbits,_ZL13mul_mat_f_idsIfLi64ELi3ELi1EEvPKT_PKfPKiS6_S6_Pfiiiiiiiiiiiiii15HIP_vector_typeIjLj3EES9_,comdat
.Lfunc_end75:
	.size	_ZL13mul_mat_f_idsIfLi64ELi3ELi1EEvPKT_PKfPKiS6_S6_Pfiiiiiiiiiiiiii15HIP_vector_typeIjLj3EES9_, .Lfunc_end75-_ZL13mul_mat_f_idsIfLi64ELi3ELi1EEvPKT_PKfPKiS6_S6_Pfiiiiiiiiiiiiii15HIP_vector_typeIjLj3EES9_
                                        ; -- End function
	.set _ZL13mul_mat_f_idsIfLi64ELi3ELi1EEvPKT_PKfPKiS6_S6_Pfiiiiiiiiiiiiii15HIP_vector_typeIjLj3EES9_.num_vgpr, max(3, .L_ZL14no_device_codePKciS0_iS0_.num_vgpr)
	.set _ZL13mul_mat_f_idsIfLi64ELi3ELi1EEvPKT_PKfPKiS6_S6_Pfiiiiiiiiiiiiii15HIP_vector_typeIjLj3EES9_.num_agpr, max(0, .L_ZL14no_device_codePKciS0_iS0_.num_agpr)
	.set _ZL13mul_mat_f_idsIfLi64ELi3ELi1EEvPKT_PKfPKiS6_S6_Pfiiiiiiiiiiiiii15HIP_vector_typeIjLj3EES9_.numbered_sgpr, max(33, .L_ZL14no_device_codePKciS0_iS0_.numbered_sgpr)
	.set _ZL13mul_mat_f_idsIfLi64ELi3ELi1EEvPKT_PKfPKiS6_S6_Pfiiiiiiiiiiiiii15HIP_vector_typeIjLj3EES9_.num_named_barrier, max(0, .L_ZL14no_device_codePKciS0_iS0_.num_named_barrier)
	.set _ZL13mul_mat_f_idsIfLi64ELi3ELi1EEvPKT_PKfPKiS6_S6_Pfiiiiiiiiiiiiii15HIP_vector_typeIjLj3EES9_.private_seg_size, 0+max(.L_ZL14no_device_codePKciS0_iS0_.private_seg_size)
	.set _ZL13mul_mat_f_idsIfLi64ELi3ELi1EEvPKT_PKfPKiS6_S6_Pfiiiiiiiiiiiiii15HIP_vector_typeIjLj3EES9_.uses_vcc, or(1, .L_ZL14no_device_codePKciS0_iS0_.uses_vcc)
	.set _ZL13mul_mat_f_idsIfLi64ELi3ELi1EEvPKT_PKfPKiS6_S6_Pfiiiiiiiiiiiiii15HIP_vector_typeIjLj3EES9_.uses_flat_scratch, or(0, .L_ZL14no_device_codePKciS0_iS0_.uses_flat_scratch)
	.set _ZL13mul_mat_f_idsIfLi64ELi3ELi1EEvPKT_PKfPKiS6_S6_Pfiiiiiiiiiiiiii15HIP_vector_typeIjLj3EES9_.has_dyn_sized_stack, or(0, .L_ZL14no_device_codePKciS0_iS0_.has_dyn_sized_stack)
	.set _ZL13mul_mat_f_idsIfLi64ELi3ELi1EEvPKT_PKfPKiS6_S6_Pfiiiiiiiiiiiiii15HIP_vector_typeIjLj3EES9_.has_recursion, or(0, .L_ZL14no_device_codePKciS0_iS0_.has_recursion)
	.set _ZL13mul_mat_f_idsIfLi64ELi3ELi1EEvPKT_PKfPKiS6_S6_Pfiiiiiiiiiiiiii15HIP_vector_typeIjLj3EES9_.has_indirect_call, or(0, .L_ZL14no_device_codePKciS0_iS0_.has_indirect_call)
	.section	.AMDGPU.csdata,"",@progbits
; Kernel info:
; codeLenInByte = 84
; TotalNumSgprs: 38
; NumVgprs: 38
; ScratchSize: 16
; MemoryBound: 0
; FloatMode: 240
; IeeeMode: 1
; LDSByteSize: 0 bytes/workgroup (compile time only)
; SGPRBlocks: 4
; VGPRBlocks: 9
; NumSGPRsForWavesPerEU: 38
; NumVGPRsForWavesPerEU: 38
; Occupancy: 6
; WaveLimiterHint : 1
; COMPUTE_PGM_RSRC2:SCRATCH_EN: 1
; COMPUTE_PGM_RSRC2:USER_SGPR: 6
; COMPUTE_PGM_RSRC2:TRAP_HANDLER: 0
; COMPUTE_PGM_RSRC2:TGID_X_EN: 1
; COMPUTE_PGM_RSRC2:TGID_Y_EN: 0
; COMPUTE_PGM_RSRC2:TGID_Z_EN: 0
; COMPUTE_PGM_RSRC2:TIDIG_COMP_CNT: 0
	.section	.text._ZL9mul_mat_fIfLi64ELi3ELi1ELb1EEvPKT_PKfPKiPfiiiiiiiiiiiiiiii,"axG",@progbits,_ZL9mul_mat_fIfLi64ELi3ELi1ELb1EEvPKT_PKfPKiPfiiiiiiiiiiiiiiii,comdat
	.globl	_ZL9mul_mat_fIfLi64ELi3ELi1ELb1EEvPKT_PKfPKiPfiiiiiiiiiiiiiiii ; -- Begin function _ZL9mul_mat_fIfLi64ELi3ELi1ELb1EEvPKT_PKfPKiPfiiiiiiiiiiiiiiii
	.p2align	8
	.type	_ZL9mul_mat_fIfLi64ELi3ELi1ELb1EEvPKT_PKfPKiPfiiiiiiiiiiiiiiii,@function
_ZL9mul_mat_fIfLi64ELi3ELi1ELb1EEvPKT_PKfPKiPfiiiiiiiiiiiiiiii: ; @_ZL9mul_mat_fIfLi64ELi3ELi1ELb1EEvPKT_PKfPKiPfiiiiiiiiiiiiiiii
; %bb.0:
	s_add_u32 s0, s0, s7
	s_addc_u32 s1, s1, 0
	s_add_u32 s8, s4, 0x60
	s_addc_u32 s9, s5, 0
	s_getpc_b64 s[4:5]
	s_add_u32 s4, s4, __FUNCTION__._ZL9mul_mat_fIfLi32ELi3ELi1ELb1EEvPKT_PKfPKiPfiiiiiiiiiiiiiiii@rel32@lo+4
	s_addc_u32 s5, s5, __FUNCTION__._ZL9mul_mat_fIfLi32ELi3ELi1ELb1EEvPKT_PKfPKiPfiiiiiiiiiiiiiiii@rel32@hi+12
	s_getpc_b64 s[6:7]
	s_add_u32 s6, s6, _ZL14no_device_codePKciS0_iS0_@rel32@lo+4
	s_addc_u32 s7, s7, _ZL14no_device_codePKciS0_iS0_@rel32@hi+12
	v_mov_b32_e32 v0, 0x124
	v_mov_b32_e32 v1, s4
	;; [unrolled: 1-line block ×3, first 2 shown]
	s_mov_b32 s32, 0
	s_swappc_b64 s[30:31], s[6:7]
	.section	.rodata,"a",@progbits
	.p2align	6, 0x0
	.amdhsa_kernel _ZL9mul_mat_fIfLi64ELi3ELi1ELb1EEvPKT_PKfPKiPfiiiiiiiiiiiiiiii
		.amdhsa_group_segment_fixed_size 0
		.amdhsa_private_segment_fixed_size 16
		.amdhsa_kernarg_size 352
		.amdhsa_user_sgpr_count 6
		.amdhsa_user_sgpr_private_segment_buffer 1
		.amdhsa_user_sgpr_dispatch_ptr 0
		.amdhsa_user_sgpr_queue_ptr 0
		.amdhsa_user_sgpr_kernarg_segment_ptr 1
		.amdhsa_user_sgpr_dispatch_id 0
		.amdhsa_user_sgpr_flat_scratch_init 0
		.amdhsa_user_sgpr_private_segment_size 0
		.amdhsa_uses_dynamic_stack 0
		.amdhsa_system_sgpr_private_segment_wavefront_offset 1
		.amdhsa_system_sgpr_workgroup_id_x 1
		.amdhsa_system_sgpr_workgroup_id_y 0
		.amdhsa_system_sgpr_workgroup_id_z 0
		.amdhsa_system_sgpr_workgroup_info 0
		.amdhsa_system_vgpr_workitem_id 0
		.amdhsa_next_free_vgpr 38
		.amdhsa_next_free_sgpr 34
		.amdhsa_reserve_vcc 1
		.amdhsa_reserve_flat_scratch 0
		.amdhsa_float_round_mode_32 0
		.amdhsa_float_round_mode_16_64 0
		.amdhsa_float_denorm_mode_32 3
		.amdhsa_float_denorm_mode_16_64 3
		.amdhsa_dx10_clamp 1
		.amdhsa_ieee_mode 1
		.amdhsa_fp16_overflow 0
		.amdhsa_exception_fp_ieee_invalid_op 0
		.amdhsa_exception_fp_denorm_src 0
		.amdhsa_exception_fp_ieee_div_zero 0
		.amdhsa_exception_fp_ieee_overflow 0
		.amdhsa_exception_fp_ieee_underflow 0
		.amdhsa_exception_fp_ieee_inexact 0
		.amdhsa_exception_int_div_zero 0
	.end_amdhsa_kernel
	.section	.text._ZL9mul_mat_fIfLi64ELi3ELi1ELb1EEvPKT_PKfPKiPfiiiiiiiiiiiiiiii,"axG",@progbits,_ZL9mul_mat_fIfLi64ELi3ELi1ELb1EEvPKT_PKfPKiPfiiiiiiiiiiiiiiii,comdat
.Lfunc_end76:
	.size	_ZL9mul_mat_fIfLi64ELi3ELi1ELb1EEvPKT_PKfPKiPfiiiiiiiiiiiiiiii, .Lfunc_end76-_ZL9mul_mat_fIfLi64ELi3ELi1ELb1EEvPKT_PKfPKiPfiiiiiiiiiiiiiiii
                                        ; -- End function
	.set _ZL9mul_mat_fIfLi64ELi3ELi1ELb1EEvPKT_PKfPKiPfiiiiiiiiiiiiiiii.num_vgpr, max(3, .L_ZL14no_device_codePKciS0_iS0_.num_vgpr)
	.set _ZL9mul_mat_fIfLi64ELi3ELi1ELb1EEvPKT_PKfPKiPfiiiiiiiiiiiiiiii.num_agpr, max(0, .L_ZL14no_device_codePKciS0_iS0_.num_agpr)
	.set _ZL9mul_mat_fIfLi64ELi3ELi1ELb1EEvPKT_PKfPKiPfiiiiiiiiiiiiiiii.numbered_sgpr, max(33, .L_ZL14no_device_codePKciS0_iS0_.numbered_sgpr)
	.set _ZL9mul_mat_fIfLi64ELi3ELi1ELb1EEvPKT_PKfPKiPfiiiiiiiiiiiiiiii.num_named_barrier, max(0, .L_ZL14no_device_codePKciS0_iS0_.num_named_barrier)
	.set _ZL9mul_mat_fIfLi64ELi3ELi1ELb1EEvPKT_PKfPKiPfiiiiiiiiiiiiiiii.private_seg_size, 0+max(.L_ZL14no_device_codePKciS0_iS0_.private_seg_size)
	.set _ZL9mul_mat_fIfLi64ELi3ELi1ELb1EEvPKT_PKfPKiPfiiiiiiiiiiiiiiii.uses_vcc, or(1, .L_ZL14no_device_codePKciS0_iS0_.uses_vcc)
	.set _ZL9mul_mat_fIfLi64ELi3ELi1ELb1EEvPKT_PKfPKiPfiiiiiiiiiiiiiiii.uses_flat_scratch, or(0, .L_ZL14no_device_codePKciS0_iS0_.uses_flat_scratch)
	.set _ZL9mul_mat_fIfLi64ELi3ELi1ELb1EEvPKT_PKfPKiPfiiiiiiiiiiiiiiii.has_dyn_sized_stack, or(0, .L_ZL14no_device_codePKciS0_iS0_.has_dyn_sized_stack)
	.set _ZL9mul_mat_fIfLi64ELi3ELi1ELb1EEvPKT_PKfPKiPfiiiiiiiiiiiiiiii.has_recursion, or(0, .L_ZL14no_device_codePKciS0_iS0_.has_recursion)
	.set _ZL9mul_mat_fIfLi64ELi3ELi1ELb1EEvPKT_PKfPKiPfiiiiiiiiiiiiiiii.has_indirect_call, or(0, .L_ZL14no_device_codePKciS0_iS0_.has_indirect_call)
	.section	.AMDGPU.csdata,"",@progbits
; Kernel info:
; codeLenInByte = 84
; TotalNumSgprs: 38
; NumVgprs: 38
; ScratchSize: 16
; MemoryBound: 0
; FloatMode: 240
; IeeeMode: 1
; LDSByteSize: 0 bytes/workgroup (compile time only)
; SGPRBlocks: 4
; VGPRBlocks: 9
; NumSGPRsForWavesPerEU: 38
; NumVGPRsForWavesPerEU: 38
; Occupancy: 6
; WaveLimiterHint : 1
; COMPUTE_PGM_RSRC2:SCRATCH_EN: 1
; COMPUTE_PGM_RSRC2:USER_SGPR: 6
; COMPUTE_PGM_RSRC2:TRAP_HANDLER: 0
; COMPUTE_PGM_RSRC2:TGID_X_EN: 1
; COMPUTE_PGM_RSRC2:TGID_Y_EN: 0
; COMPUTE_PGM_RSRC2:TGID_Z_EN: 0
; COMPUTE_PGM_RSRC2:TIDIG_COMP_CNT: 0
	.section	.text._ZL9mul_mat_fIfLi64ELi3ELi1ELb0EEvPKT_PKfPKiPfiiiiiiiiiiiiiiii,"axG",@progbits,_ZL9mul_mat_fIfLi64ELi3ELi1ELb0EEvPKT_PKfPKiPfiiiiiiiiiiiiiiii,comdat
	.globl	_ZL9mul_mat_fIfLi64ELi3ELi1ELb0EEvPKT_PKfPKiPfiiiiiiiiiiiiiiii ; -- Begin function _ZL9mul_mat_fIfLi64ELi3ELi1ELb0EEvPKT_PKfPKiPfiiiiiiiiiiiiiiii
	.p2align	8
	.type	_ZL9mul_mat_fIfLi64ELi3ELi1ELb0EEvPKT_PKfPKiPfiiiiiiiiiiiiiiii,@function
_ZL9mul_mat_fIfLi64ELi3ELi1ELb0EEvPKT_PKfPKiPfiiiiiiiiiiiiiiii: ; @_ZL9mul_mat_fIfLi64ELi3ELi1ELb0EEvPKT_PKfPKiPfiiiiiiiiiiiiiiii
; %bb.0:
	s_add_u32 s0, s0, s7
	s_addc_u32 s1, s1, 0
	s_add_u32 s8, s4, 0x60
	s_addc_u32 s9, s5, 0
	s_getpc_b64 s[4:5]
	s_add_u32 s4, s4, __FUNCTION__._ZL9mul_mat_fIfLi32ELi3ELi1ELb1EEvPKT_PKfPKiPfiiiiiiiiiiiiiiii@rel32@lo+4
	s_addc_u32 s5, s5, __FUNCTION__._ZL9mul_mat_fIfLi32ELi3ELi1ELb1EEvPKT_PKfPKiPfiiiiiiiiiiiiiiii@rel32@hi+12
	s_getpc_b64 s[6:7]
	s_add_u32 s6, s6, _ZL14no_device_codePKciS0_iS0_@rel32@lo+4
	s_addc_u32 s7, s7, _ZL14no_device_codePKciS0_iS0_@rel32@hi+12
	v_mov_b32_e32 v0, 0x124
	v_mov_b32_e32 v1, s4
	v_mov_b32_e32 v2, s5
	s_mov_b32 s32, 0
	s_swappc_b64 s[30:31], s[6:7]
	.section	.rodata,"a",@progbits
	.p2align	6, 0x0
	.amdhsa_kernel _ZL9mul_mat_fIfLi64ELi3ELi1ELb0EEvPKT_PKfPKiPfiiiiiiiiiiiiiiii
		.amdhsa_group_segment_fixed_size 0
		.amdhsa_private_segment_fixed_size 16
		.amdhsa_kernarg_size 352
		.amdhsa_user_sgpr_count 6
		.amdhsa_user_sgpr_private_segment_buffer 1
		.amdhsa_user_sgpr_dispatch_ptr 0
		.amdhsa_user_sgpr_queue_ptr 0
		.amdhsa_user_sgpr_kernarg_segment_ptr 1
		.amdhsa_user_sgpr_dispatch_id 0
		.amdhsa_user_sgpr_flat_scratch_init 0
		.amdhsa_user_sgpr_private_segment_size 0
		.amdhsa_uses_dynamic_stack 0
		.amdhsa_system_sgpr_private_segment_wavefront_offset 1
		.amdhsa_system_sgpr_workgroup_id_x 1
		.amdhsa_system_sgpr_workgroup_id_y 0
		.amdhsa_system_sgpr_workgroup_id_z 0
		.amdhsa_system_sgpr_workgroup_info 0
		.amdhsa_system_vgpr_workitem_id 0
		.amdhsa_next_free_vgpr 38
		.amdhsa_next_free_sgpr 34
		.amdhsa_reserve_vcc 1
		.amdhsa_reserve_flat_scratch 0
		.amdhsa_float_round_mode_32 0
		.amdhsa_float_round_mode_16_64 0
		.amdhsa_float_denorm_mode_32 3
		.amdhsa_float_denorm_mode_16_64 3
		.amdhsa_dx10_clamp 1
		.amdhsa_ieee_mode 1
		.amdhsa_fp16_overflow 0
		.amdhsa_exception_fp_ieee_invalid_op 0
		.amdhsa_exception_fp_denorm_src 0
		.amdhsa_exception_fp_ieee_div_zero 0
		.amdhsa_exception_fp_ieee_overflow 0
		.amdhsa_exception_fp_ieee_underflow 0
		.amdhsa_exception_fp_ieee_inexact 0
		.amdhsa_exception_int_div_zero 0
	.end_amdhsa_kernel
	.section	.text._ZL9mul_mat_fIfLi64ELi3ELi1ELb0EEvPKT_PKfPKiPfiiiiiiiiiiiiiiii,"axG",@progbits,_ZL9mul_mat_fIfLi64ELi3ELi1ELb0EEvPKT_PKfPKiPfiiiiiiiiiiiiiiii,comdat
.Lfunc_end77:
	.size	_ZL9mul_mat_fIfLi64ELi3ELi1ELb0EEvPKT_PKfPKiPfiiiiiiiiiiiiiiii, .Lfunc_end77-_ZL9mul_mat_fIfLi64ELi3ELi1ELb0EEvPKT_PKfPKiPfiiiiiiiiiiiiiiii
                                        ; -- End function
	.set _ZL9mul_mat_fIfLi64ELi3ELi1ELb0EEvPKT_PKfPKiPfiiiiiiiiiiiiiiii.num_vgpr, max(3, .L_ZL14no_device_codePKciS0_iS0_.num_vgpr)
	.set _ZL9mul_mat_fIfLi64ELi3ELi1ELb0EEvPKT_PKfPKiPfiiiiiiiiiiiiiiii.num_agpr, max(0, .L_ZL14no_device_codePKciS0_iS0_.num_agpr)
	.set _ZL9mul_mat_fIfLi64ELi3ELi1ELb0EEvPKT_PKfPKiPfiiiiiiiiiiiiiiii.numbered_sgpr, max(33, .L_ZL14no_device_codePKciS0_iS0_.numbered_sgpr)
	.set _ZL9mul_mat_fIfLi64ELi3ELi1ELb0EEvPKT_PKfPKiPfiiiiiiiiiiiiiiii.num_named_barrier, max(0, .L_ZL14no_device_codePKciS0_iS0_.num_named_barrier)
	.set _ZL9mul_mat_fIfLi64ELi3ELi1ELb0EEvPKT_PKfPKiPfiiiiiiiiiiiiiiii.private_seg_size, 0+max(.L_ZL14no_device_codePKciS0_iS0_.private_seg_size)
	.set _ZL9mul_mat_fIfLi64ELi3ELi1ELb0EEvPKT_PKfPKiPfiiiiiiiiiiiiiiii.uses_vcc, or(1, .L_ZL14no_device_codePKciS0_iS0_.uses_vcc)
	.set _ZL9mul_mat_fIfLi64ELi3ELi1ELb0EEvPKT_PKfPKiPfiiiiiiiiiiiiiiii.uses_flat_scratch, or(0, .L_ZL14no_device_codePKciS0_iS0_.uses_flat_scratch)
	.set _ZL9mul_mat_fIfLi64ELi3ELi1ELb0EEvPKT_PKfPKiPfiiiiiiiiiiiiiiii.has_dyn_sized_stack, or(0, .L_ZL14no_device_codePKciS0_iS0_.has_dyn_sized_stack)
	.set _ZL9mul_mat_fIfLi64ELi3ELi1ELb0EEvPKT_PKfPKiPfiiiiiiiiiiiiiiii.has_recursion, or(0, .L_ZL14no_device_codePKciS0_iS0_.has_recursion)
	.set _ZL9mul_mat_fIfLi64ELi3ELi1ELb0EEvPKT_PKfPKiPfiiiiiiiiiiiiiiii.has_indirect_call, or(0, .L_ZL14no_device_codePKciS0_iS0_.has_indirect_call)
	.section	.AMDGPU.csdata,"",@progbits
; Kernel info:
; codeLenInByte = 84
; TotalNumSgprs: 38
; NumVgprs: 38
; ScratchSize: 16
; MemoryBound: 0
; FloatMode: 240
; IeeeMode: 1
; LDSByteSize: 0 bytes/workgroup (compile time only)
; SGPRBlocks: 4
; VGPRBlocks: 9
; NumSGPRsForWavesPerEU: 38
; NumVGPRsForWavesPerEU: 38
; Occupancy: 6
; WaveLimiterHint : 1
; COMPUTE_PGM_RSRC2:SCRATCH_EN: 1
; COMPUTE_PGM_RSRC2:USER_SGPR: 6
; COMPUTE_PGM_RSRC2:TRAP_HANDLER: 0
; COMPUTE_PGM_RSRC2:TGID_X_EN: 1
; COMPUTE_PGM_RSRC2:TGID_Y_EN: 0
; COMPUTE_PGM_RSRC2:TGID_Z_EN: 0
; COMPUTE_PGM_RSRC2:TIDIG_COMP_CNT: 0
	.section	.text._ZL13mul_mat_f_idsIfLi64ELi3ELi2EEvPKT_PKfPKiS6_S6_Pfiiiiiiiiiiiiii15HIP_vector_typeIjLj3EES9_,"axG",@progbits,_ZL13mul_mat_f_idsIfLi64ELi3ELi2EEvPKT_PKfPKiS6_S6_Pfiiiiiiiiiiiiii15HIP_vector_typeIjLj3EES9_,comdat
	.globl	_ZL13mul_mat_f_idsIfLi64ELi3ELi2EEvPKT_PKfPKiS6_S6_Pfiiiiiiiiiiiiii15HIP_vector_typeIjLj3EES9_ ; -- Begin function _ZL13mul_mat_f_idsIfLi64ELi3ELi2EEvPKT_PKfPKiS6_S6_Pfiiiiiiiiiiiiii15HIP_vector_typeIjLj3EES9_
	.p2align	8
	.type	_ZL13mul_mat_f_idsIfLi64ELi3ELi2EEvPKT_PKfPKiS6_S6_Pfiiiiiiiiiiiiii15HIP_vector_typeIjLj3EES9_,@function
_ZL13mul_mat_f_idsIfLi64ELi3ELi2EEvPKT_PKfPKiS6_S6_Pfiiiiiiiiiiiiii15HIP_vector_typeIjLj3EES9_: ; @_ZL13mul_mat_f_idsIfLi64ELi3ELi2EEvPKT_PKfPKiS6_S6_Pfiiiiiiiiiiiiii15HIP_vector_typeIjLj3EES9_
; %bb.0:
	s_add_u32 s0, s0, s7
	s_addc_u32 s1, s1, 0
	s_add_u32 s8, s4, 0x80
	s_addc_u32 s9, s5, 0
	s_getpc_b64 s[4:5]
	s_add_u32 s4, s4, __FUNCTION__._ZL13mul_mat_f_idsIfLi32ELi3ELi1EEvPKT_PKfPKiS6_S6_Pfiiiiiiiiiiiiii15HIP_vector_typeIjLj3EES9_@rel32@lo+4
	s_addc_u32 s5, s5, __FUNCTION__._ZL13mul_mat_f_idsIfLi32ELi3ELi1EEvPKT_PKfPKiS6_S6_Pfiiiiiiiiiiiiii15HIP_vector_typeIjLj3EES9_@rel32@hi+12
	s_getpc_b64 s[6:7]
	s_add_u32 s6, s6, _ZL14no_device_codePKciS0_iS0_@rel32@lo+4
	s_addc_u32 s7, s7, _ZL14no_device_codePKciS0_iS0_@rel32@hi+12
	v_mov_b32_e32 v0, 0x238
	v_mov_b32_e32 v1, s4
	;; [unrolled: 1-line block ×3, first 2 shown]
	s_mov_b32 s32, 0
	s_swappc_b64 s[30:31], s[6:7]
	.section	.rodata,"a",@progbits
	.p2align	6, 0x0
	.amdhsa_kernel _ZL13mul_mat_f_idsIfLi64ELi3ELi2EEvPKT_PKfPKiS6_S6_Pfiiiiiiiiiiiiii15HIP_vector_typeIjLj3EES9_
		.amdhsa_group_segment_fixed_size 0
		.amdhsa_private_segment_fixed_size 16
		.amdhsa_kernarg_size 384
		.amdhsa_user_sgpr_count 6
		.amdhsa_user_sgpr_private_segment_buffer 1
		.amdhsa_user_sgpr_dispatch_ptr 0
		.amdhsa_user_sgpr_queue_ptr 0
		.amdhsa_user_sgpr_kernarg_segment_ptr 1
		.amdhsa_user_sgpr_dispatch_id 0
		.amdhsa_user_sgpr_flat_scratch_init 0
		.amdhsa_user_sgpr_private_segment_size 0
		.amdhsa_uses_dynamic_stack 0
		.amdhsa_system_sgpr_private_segment_wavefront_offset 1
		.amdhsa_system_sgpr_workgroup_id_x 1
		.amdhsa_system_sgpr_workgroup_id_y 0
		.amdhsa_system_sgpr_workgroup_id_z 0
		.amdhsa_system_sgpr_workgroup_info 0
		.amdhsa_system_vgpr_workitem_id 0
		.amdhsa_next_free_vgpr 38
		.amdhsa_next_free_sgpr 34
		.amdhsa_reserve_vcc 1
		.amdhsa_reserve_flat_scratch 0
		.amdhsa_float_round_mode_32 0
		.amdhsa_float_round_mode_16_64 0
		.amdhsa_float_denorm_mode_32 3
		.amdhsa_float_denorm_mode_16_64 3
		.amdhsa_dx10_clamp 1
		.amdhsa_ieee_mode 1
		.amdhsa_fp16_overflow 0
		.amdhsa_exception_fp_ieee_invalid_op 0
		.amdhsa_exception_fp_denorm_src 0
		.amdhsa_exception_fp_ieee_div_zero 0
		.amdhsa_exception_fp_ieee_overflow 0
		.amdhsa_exception_fp_ieee_underflow 0
		.amdhsa_exception_fp_ieee_inexact 0
		.amdhsa_exception_int_div_zero 0
	.end_amdhsa_kernel
	.section	.text._ZL13mul_mat_f_idsIfLi64ELi3ELi2EEvPKT_PKfPKiS6_S6_Pfiiiiiiiiiiiiii15HIP_vector_typeIjLj3EES9_,"axG",@progbits,_ZL13mul_mat_f_idsIfLi64ELi3ELi2EEvPKT_PKfPKiS6_S6_Pfiiiiiiiiiiiiii15HIP_vector_typeIjLj3EES9_,comdat
.Lfunc_end78:
	.size	_ZL13mul_mat_f_idsIfLi64ELi3ELi2EEvPKT_PKfPKiS6_S6_Pfiiiiiiiiiiiiii15HIP_vector_typeIjLj3EES9_, .Lfunc_end78-_ZL13mul_mat_f_idsIfLi64ELi3ELi2EEvPKT_PKfPKiS6_S6_Pfiiiiiiiiiiiiii15HIP_vector_typeIjLj3EES9_
                                        ; -- End function
	.set _ZL13mul_mat_f_idsIfLi64ELi3ELi2EEvPKT_PKfPKiS6_S6_Pfiiiiiiiiiiiiii15HIP_vector_typeIjLj3EES9_.num_vgpr, max(3, .L_ZL14no_device_codePKciS0_iS0_.num_vgpr)
	.set _ZL13mul_mat_f_idsIfLi64ELi3ELi2EEvPKT_PKfPKiS6_S6_Pfiiiiiiiiiiiiii15HIP_vector_typeIjLj3EES9_.num_agpr, max(0, .L_ZL14no_device_codePKciS0_iS0_.num_agpr)
	.set _ZL13mul_mat_f_idsIfLi64ELi3ELi2EEvPKT_PKfPKiS6_S6_Pfiiiiiiiiiiiiii15HIP_vector_typeIjLj3EES9_.numbered_sgpr, max(33, .L_ZL14no_device_codePKciS0_iS0_.numbered_sgpr)
	.set _ZL13mul_mat_f_idsIfLi64ELi3ELi2EEvPKT_PKfPKiS6_S6_Pfiiiiiiiiiiiiii15HIP_vector_typeIjLj3EES9_.num_named_barrier, max(0, .L_ZL14no_device_codePKciS0_iS0_.num_named_barrier)
	.set _ZL13mul_mat_f_idsIfLi64ELi3ELi2EEvPKT_PKfPKiS6_S6_Pfiiiiiiiiiiiiii15HIP_vector_typeIjLj3EES9_.private_seg_size, 0+max(.L_ZL14no_device_codePKciS0_iS0_.private_seg_size)
	.set _ZL13mul_mat_f_idsIfLi64ELi3ELi2EEvPKT_PKfPKiS6_S6_Pfiiiiiiiiiiiiii15HIP_vector_typeIjLj3EES9_.uses_vcc, or(1, .L_ZL14no_device_codePKciS0_iS0_.uses_vcc)
	.set _ZL13mul_mat_f_idsIfLi64ELi3ELi2EEvPKT_PKfPKiS6_S6_Pfiiiiiiiiiiiiii15HIP_vector_typeIjLj3EES9_.uses_flat_scratch, or(0, .L_ZL14no_device_codePKciS0_iS0_.uses_flat_scratch)
	.set _ZL13mul_mat_f_idsIfLi64ELi3ELi2EEvPKT_PKfPKiS6_S6_Pfiiiiiiiiiiiiii15HIP_vector_typeIjLj3EES9_.has_dyn_sized_stack, or(0, .L_ZL14no_device_codePKciS0_iS0_.has_dyn_sized_stack)
	.set _ZL13mul_mat_f_idsIfLi64ELi3ELi2EEvPKT_PKfPKiS6_S6_Pfiiiiiiiiiiiiii15HIP_vector_typeIjLj3EES9_.has_recursion, or(0, .L_ZL14no_device_codePKciS0_iS0_.has_recursion)
	.set _ZL13mul_mat_f_idsIfLi64ELi3ELi2EEvPKT_PKfPKiS6_S6_Pfiiiiiiiiiiiiii15HIP_vector_typeIjLj3EES9_.has_indirect_call, or(0, .L_ZL14no_device_codePKciS0_iS0_.has_indirect_call)
	.section	.AMDGPU.csdata,"",@progbits
; Kernel info:
; codeLenInByte = 84
; TotalNumSgprs: 38
; NumVgprs: 38
; ScratchSize: 16
; MemoryBound: 0
; FloatMode: 240
; IeeeMode: 1
; LDSByteSize: 0 bytes/workgroup (compile time only)
; SGPRBlocks: 4
; VGPRBlocks: 9
; NumSGPRsForWavesPerEU: 38
; NumVGPRsForWavesPerEU: 38
; Occupancy: 6
; WaveLimiterHint : 1
; COMPUTE_PGM_RSRC2:SCRATCH_EN: 1
; COMPUTE_PGM_RSRC2:USER_SGPR: 6
; COMPUTE_PGM_RSRC2:TRAP_HANDLER: 0
; COMPUTE_PGM_RSRC2:TGID_X_EN: 1
; COMPUTE_PGM_RSRC2:TGID_Y_EN: 0
; COMPUTE_PGM_RSRC2:TGID_Z_EN: 0
; COMPUTE_PGM_RSRC2:TIDIG_COMP_CNT: 0
	.section	.text._ZL9mul_mat_fIfLi64ELi3ELi2ELb1EEvPKT_PKfPKiPfiiiiiiiiiiiiiiii,"axG",@progbits,_ZL9mul_mat_fIfLi64ELi3ELi2ELb1EEvPKT_PKfPKiPfiiiiiiiiiiiiiiii,comdat
	.globl	_ZL9mul_mat_fIfLi64ELi3ELi2ELb1EEvPKT_PKfPKiPfiiiiiiiiiiiiiiii ; -- Begin function _ZL9mul_mat_fIfLi64ELi3ELi2ELb1EEvPKT_PKfPKiPfiiiiiiiiiiiiiiii
	.p2align	8
	.type	_ZL9mul_mat_fIfLi64ELi3ELi2ELb1EEvPKT_PKfPKiPfiiiiiiiiiiiiiiii,@function
_ZL9mul_mat_fIfLi64ELi3ELi2ELb1EEvPKT_PKfPKiPfiiiiiiiiiiiiiiii: ; @_ZL9mul_mat_fIfLi64ELi3ELi2ELb1EEvPKT_PKfPKiPfiiiiiiiiiiiiiiii
; %bb.0:
	s_add_u32 s0, s0, s7
	s_addc_u32 s1, s1, 0
	s_add_u32 s8, s4, 0x60
	s_addc_u32 s9, s5, 0
	s_getpc_b64 s[4:5]
	s_add_u32 s4, s4, __FUNCTION__._ZL9mul_mat_fIfLi32ELi3ELi1ELb1EEvPKT_PKfPKiPfiiiiiiiiiiiiiiii@rel32@lo+4
	s_addc_u32 s5, s5, __FUNCTION__._ZL9mul_mat_fIfLi32ELi3ELi1ELb1EEvPKT_PKfPKiPfiiiiiiiiiiiiiiii@rel32@hi+12
	s_getpc_b64 s[6:7]
	s_add_u32 s6, s6, _ZL14no_device_codePKciS0_iS0_@rel32@lo+4
	s_addc_u32 s7, s7, _ZL14no_device_codePKciS0_iS0_@rel32@hi+12
	v_mov_b32_e32 v0, 0x124
	v_mov_b32_e32 v1, s4
	;; [unrolled: 1-line block ×3, first 2 shown]
	s_mov_b32 s32, 0
	s_swappc_b64 s[30:31], s[6:7]
	.section	.rodata,"a",@progbits
	.p2align	6, 0x0
	.amdhsa_kernel _ZL9mul_mat_fIfLi64ELi3ELi2ELb1EEvPKT_PKfPKiPfiiiiiiiiiiiiiiii
		.amdhsa_group_segment_fixed_size 0
		.amdhsa_private_segment_fixed_size 16
		.amdhsa_kernarg_size 352
		.amdhsa_user_sgpr_count 6
		.amdhsa_user_sgpr_private_segment_buffer 1
		.amdhsa_user_sgpr_dispatch_ptr 0
		.amdhsa_user_sgpr_queue_ptr 0
		.amdhsa_user_sgpr_kernarg_segment_ptr 1
		.amdhsa_user_sgpr_dispatch_id 0
		.amdhsa_user_sgpr_flat_scratch_init 0
		.amdhsa_user_sgpr_private_segment_size 0
		.amdhsa_uses_dynamic_stack 0
		.amdhsa_system_sgpr_private_segment_wavefront_offset 1
		.amdhsa_system_sgpr_workgroup_id_x 1
		.amdhsa_system_sgpr_workgroup_id_y 0
		.amdhsa_system_sgpr_workgroup_id_z 0
		.amdhsa_system_sgpr_workgroup_info 0
		.amdhsa_system_vgpr_workitem_id 0
		.amdhsa_next_free_vgpr 38
		.amdhsa_next_free_sgpr 34
		.amdhsa_reserve_vcc 1
		.amdhsa_reserve_flat_scratch 0
		.amdhsa_float_round_mode_32 0
		.amdhsa_float_round_mode_16_64 0
		.amdhsa_float_denorm_mode_32 3
		.amdhsa_float_denorm_mode_16_64 3
		.amdhsa_dx10_clamp 1
		.amdhsa_ieee_mode 1
		.amdhsa_fp16_overflow 0
		.amdhsa_exception_fp_ieee_invalid_op 0
		.amdhsa_exception_fp_denorm_src 0
		.amdhsa_exception_fp_ieee_div_zero 0
		.amdhsa_exception_fp_ieee_overflow 0
		.amdhsa_exception_fp_ieee_underflow 0
		.amdhsa_exception_fp_ieee_inexact 0
		.amdhsa_exception_int_div_zero 0
	.end_amdhsa_kernel
	.section	.text._ZL9mul_mat_fIfLi64ELi3ELi2ELb1EEvPKT_PKfPKiPfiiiiiiiiiiiiiiii,"axG",@progbits,_ZL9mul_mat_fIfLi64ELi3ELi2ELb1EEvPKT_PKfPKiPfiiiiiiiiiiiiiiii,comdat
.Lfunc_end79:
	.size	_ZL9mul_mat_fIfLi64ELi3ELi2ELb1EEvPKT_PKfPKiPfiiiiiiiiiiiiiiii, .Lfunc_end79-_ZL9mul_mat_fIfLi64ELi3ELi2ELb1EEvPKT_PKfPKiPfiiiiiiiiiiiiiiii
                                        ; -- End function
	.set _ZL9mul_mat_fIfLi64ELi3ELi2ELb1EEvPKT_PKfPKiPfiiiiiiiiiiiiiiii.num_vgpr, max(3, .L_ZL14no_device_codePKciS0_iS0_.num_vgpr)
	.set _ZL9mul_mat_fIfLi64ELi3ELi2ELb1EEvPKT_PKfPKiPfiiiiiiiiiiiiiiii.num_agpr, max(0, .L_ZL14no_device_codePKciS0_iS0_.num_agpr)
	.set _ZL9mul_mat_fIfLi64ELi3ELi2ELb1EEvPKT_PKfPKiPfiiiiiiiiiiiiiiii.numbered_sgpr, max(33, .L_ZL14no_device_codePKciS0_iS0_.numbered_sgpr)
	.set _ZL9mul_mat_fIfLi64ELi3ELi2ELb1EEvPKT_PKfPKiPfiiiiiiiiiiiiiiii.num_named_barrier, max(0, .L_ZL14no_device_codePKciS0_iS0_.num_named_barrier)
	.set _ZL9mul_mat_fIfLi64ELi3ELi2ELb1EEvPKT_PKfPKiPfiiiiiiiiiiiiiiii.private_seg_size, 0+max(.L_ZL14no_device_codePKciS0_iS0_.private_seg_size)
	.set _ZL9mul_mat_fIfLi64ELi3ELi2ELb1EEvPKT_PKfPKiPfiiiiiiiiiiiiiiii.uses_vcc, or(1, .L_ZL14no_device_codePKciS0_iS0_.uses_vcc)
	.set _ZL9mul_mat_fIfLi64ELi3ELi2ELb1EEvPKT_PKfPKiPfiiiiiiiiiiiiiiii.uses_flat_scratch, or(0, .L_ZL14no_device_codePKciS0_iS0_.uses_flat_scratch)
	.set _ZL9mul_mat_fIfLi64ELi3ELi2ELb1EEvPKT_PKfPKiPfiiiiiiiiiiiiiiii.has_dyn_sized_stack, or(0, .L_ZL14no_device_codePKciS0_iS0_.has_dyn_sized_stack)
	.set _ZL9mul_mat_fIfLi64ELi3ELi2ELb1EEvPKT_PKfPKiPfiiiiiiiiiiiiiiii.has_recursion, or(0, .L_ZL14no_device_codePKciS0_iS0_.has_recursion)
	.set _ZL9mul_mat_fIfLi64ELi3ELi2ELb1EEvPKT_PKfPKiPfiiiiiiiiiiiiiiii.has_indirect_call, or(0, .L_ZL14no_device_codePKciS0_iS0_.has_indirect_call)
	.section	.AMDGPU.csdata,"",@progbits
; Kernel info:
; codeLenInByte = 84
; TotalNumSgprs: 38
; NumVgprs: 38
; ScratchSize: 16
; MemoryBound: 0
; FloatMode: 240
; IeeeMode: 1
; LDSByteSize: 0 bytes/workgroup (compile time only)
; SGPRBlocks: 4
; VGPRBlocks: 9
; NumSGPRsForWavesPerEU: 38
; NumVGPRsForWavesPerEU: 38
; Occupancy: 6
; WaveLimiterHint : 1
; COMPUTE_PGM_RSRC2:SCRATCH_EN: 1
; COMPUTE_PGM_RSRC2:USER_SGPR: 6
; COMPUTE_PGM_RSRC2:TRAP_HANDLER: 0
; COMPUTE_PGM_RSRC2:TGID_X_EN: 1
; COMPUTE_PGM_RSRC2:TGID_Y_EN: 0
; COMPUTE_PGM_RSRC2:TGID_Z_EN: 0
; COMPUTE_PGM_RSRC2:TIDIG_COMP_CNT: 0
	.section	.text._ZL9mul_mat_fIfLi64ELi3ELi2ELb0EEvPKT_PKfPKiPfiiiiiiiiiiiiiiii,"axG",@progbits,_ZL9mul_mat_fIfLi64ELi3ELi2ELb0EEvPKT_PKfPKiPfiiiiiiiiiiiiiiii,comdat
	.globl	_ZL9mul_mat_fIfLi64ELi3ELi2ELb0EEvPKT_PKfPKiPfiiiiiiiiiiiiiiii ; -- Begin function _ZL9mul_mat_fIfLi64ELi3ELi2ELb0EEvPKT_PKfPKiPfiiiiiiiiiiiiiiii
	.p2align	8
	.type	_ZL9mul_mat_fIfLi64ELi3ELi2ELb0EEvPKT_PKfPKiPfiiiiiiiiiiiiiiii,@function
_ZL9mul_mat_fIfLi64ELi3ELi2ELb0EEvPKT_PKfPKiPfiiiiiiiiiiiiiiii: ; @_ZL9mul_mat_fIfLi64ELi3ELi2ELb0EEvPKT_PKfPKiPfiiiiiiiiiiiiiiii
; %bb.0:
	s_add_u32 s0, s0, s7
	s_addc_u32 s1, s1, 0
	s_add_u32 s8, s4, 0x60
	s_addc_u32 s9, s5, 0
	s_getpc_b64 s[4:5]
	s_add_u32 s4, s4, __FUNCTION__._ZL9mul_mat_fIfLi32ELi3ELi1ELb1EEvPKT_PKfPKiPfiiiiiiiiiiiiiiii@rel32@lo+4
	s_addc_u32 s5, s5, __FUNCTION__._ZL9mul_mat_fIfLi32ELi3ELi1ELb1EEvPKT_PKfPKiPfiiiiiiiiiiiiiiii@rel32@hi+12
	s_getpc_b64 s[6:7]
	s_add_u32 s6, s6, _ZL14no_device_codePKciS0_iS0_@rel32@lo+4
	s_addc_u32 s7, s7, _ZL14no_device_codePKciS0_iS0_@rel32@hi+12
	v_mov_b32_e32 v0, 0x124
	v_mov_b32_e32 v1, s4
	;; [unrolled: 1-line block ×3, first 2 shown]
	s_mov_b32 s32, 0
	s_swappc_b64 s[30:31], s[6:7]
	.section	.rodata,"a",@progbits
	.p2align	6, 0x0
	.amdhsa_kernel _ZL9mul_mat_fIfLi64ELi3ELi2ELb0EEvPKT_PKfPKiPfiiiiiiiiiiiiiiii
		.amdhsa_group_segment_fixed_size 0
		.amdhsa_private_segment_fixed_size 16
		.amdhsa_kernarg_size 352
		.amdhsa_user_sgpr_count 6
		.amdhsa_user_sgpr_private_segment_buffer 1
		.amdhsa_user_sgpr_dispatch_ptr 0
		.amdhsa_user_sgpr_queue_ptr 0
		.amdhsa_user_sgpr_kernarg_segment_ptr 1
		.amdhsa_user_sgpr_dispatch_id 0
		.amdhsa_user_sgpr_flat_scratch_init 0
		.amdhsa_user_sgpr_private_segment_size 0
		.amdhsa_uses_dynamic_stack 0
		.amdhsa_system_sgpr_private_segment_wavefront_offset 1
		.amdhsa_system_sgpr_workgroup_id_x 1
		.amdhsa_system_sgpr_workgroup_id_y 0
		.amdhsa_system_sgpr_workgroup_id_z 0
		.amdhsa_system_sgpr_workgroup_info 0
		.amdhsa_system_vgpr_workitem_id 0
		.amdhsa_next_free_vgpr 38
		.amdhsa_next_free_sgpr 34
		.amdhsa_reserve_vcc 1
		.amdhsa_reserve_flat_scratch 0
		.amdhsa_float_round_mode_32 0
		.amdhsa_float_round_mode_16_64 0
		.amdhsa_float_denorm_mode_32 3
		.amdhsa_float_denorm_mode_16_64 3
		.amdhsa_dx10_clamp 1
		.amdhsa_ieee_mode 1
		.amdhsa_fp16_overflow 0
		.amdhsa_exception_fp_ieee_invalid_op 0
		.amdhsa_exception_fp_denorm_src 0
		.amdhsa_exception_fp_ieee_div_zero 0
		.amdhsa_exception_fp_ieee_overflow 0
		.amdhsa_exception_fp_ieee_underflow 0
		.amdhsa_exception_fp_ieee_inexact 0
		.amdhsa_exception_int_div_zero 0
	.end_amdhsa_kernel
	.section	.text._ZL9mul_mat_fIfLi64ELi3ELi2ELb0EEvPKT_PKfPKiPfiiiiiiiiiiiiiiii,"axG",@progbits,_ZL9mul_mat_fIfLi64ELi3ELi2ELb0EEvPKT_PKfPKiPfiiiiiiiiiiiiiiii,comdat
.Lfunc_end80:
	.size	_ZL9mul_mat_fIfLi64ELi3ELi2ELb0EEvPKT_PKfPKiPfiiiiiiiiiiiiiiii, .Lfunc_end80-_ZL9mul_mat_fIfLi64ELi3ELi2ELb0EEvPKT_PKfPKiPfiiiiiiiiiiiiiiii
                                        ; -- End function
	.set _ZL9mul_mat_fIfLi64ELi3ELi2ELb0EEvPKT_PKfPKiPfiiiiiiiiiiiiiiii.num_vgpr, max(3, .L_ZL14no_device_codePKciS0_iS0_.num_vgpr)
	.set _ZL9mul_mat_fIfLi64ELi3ELi2ELb0EEvPKT_PKfPKiPfiiiiiiiiiiiiiiii.num_agpr, max(0, .L_ZL14no_device_codePKciS0_iS0_.num_agpr)
	.set _ZL9mul_mat_fIfLi64ELi3ELi2ELb0EEvPKT_PKfPKiPfiiiiiiiiiiiiiiii.numbered_sgpr, max(33, .L_ZL14no_device_codePKciS0_iS0_.numbered_sgpr)
	.set _ZL9mul_mat_fIfLi64ELi3ELi2ELb0EEvPKT_PKfPKiPfiiiiiiiiiiiiiiii.num_named_barrier, max(0, .L_ZL14no_device_codePKciS0_iS0_.num_named_barrier)
	.set _ZL9mul_mat_fIfLi64ELi3ELi2ELb0EEvPKT_PKfPKiPfiiiiiiiiiiiiiiii.private_seg_size, 0+max(.L_ZL14no_device_codePKciS0_iS0_.private_seg_size)
	.set _ZL9mul_mat_fIfLi64ELi3ELi2ELb0EEvPKT_PKfPKiPfiiiiiiiiiiiiiiii.uses_vcc, or(1, .L_ZL14no_device_codePKciS0_iS0_.uses_vcc)
	.set _ZL9mul_mat_fIfLi64ELi3ELi2ELb0EEvPKT_PKfPKiPfiiiiiiiiiiiiiiii.uses_flat_scratch, or(0, .L_ZL14no_device_codePKciS0_iS0_.uses_flat_scratch)
	.set _ZL9mul_mat_fIfLi64ELi3ELi2ELb0EEvPKT_PKfPKiPfiiiiiiiiiiiiiiii.has_dyn_sized_stack, or(0, .L_ZL14no_device_codePKciS0_iS0_.has_dyn_sized_stack)
	.set _ZL9mul_mat_fIfLi64ELi3ELi2ELb0EEvPKT_PKfPKiPfiiiiiiiiiiiiiiii.has_recursion, or(0, .L_ZL14no_device_codePKciS0_iS0_.has_recursion)
	.set _ZL9mul_mat_fIfLi64ELi3ELi2ELb0EEvPKT_PKfPKiPfiiiiiiiiiiiiiiii.has_indirect_call, or(0, .L_ZL14no_device_codePKciS0_iS0_.has_indirect_call)
	.section	.AMDGPU.csdata,"",@progbits
; Kernel info:
; codeLenInByte = 84
; TotalNumSgprs: 38
; NumVgprs: 38
; ScratchSize: 16
; MemoryBound: 0
; FloatMode: 240
; IeeeMode: 1
; LDSByteSize: 0 bytes/workgroup (compile time only)
; SGPRBlocks: 4
; VGPRBlocks: 9
; NumSGPRsForWavesPerEU: 38
; NumVGPRsForWavesPerEU: 38
; Occupancy: 6
; WaveLimiterHint : 1
; COMPUTE_PGM_RSRC2:SCRATCH_EN: 1
; COMPUTE_PGM_RSRC2:USER_SGPR: 6
; COMPUTE_PGM_RSRC2:TRAP_HANDLER: 0
; COMPUTE_PGM_RSRC2:TGID_X_EN: 1
; COMPUTE_PGM_RSRC2:TGID_Y_EN: 0
; COMPUTE_PGM_RSRC2:TGID_Z_EN: 0
; COMPUTE_PGM_RSRC2:TIDIG_COMP_CNT: 0
	.section	.text._ZL13mul_mat_f_idsIfLi64ELi3ELi3EEvPKT_PKfPKiS6_S6_Pfiiiiiiiiiiiiii15HIP_vector_typeIjLj3EES9_,"axG",@progbits,_ZL13mul_mat_f_idsIfLi64ELi3ELi3EEvPKT_PKfPKiS6_S6_Pfiiiiiiiiiiiiii15HIP_vector_typeIjLj3EES9_,comdat
	.globl	_ZL13mul_mat_f_idsIfLi64ELi3ELi3EEvPKT_PKfPKiS6_S6_Pfiiiiiiiiiiiiii15HIP_vector_typeIjLj3EES9_ ; -- Begin function _ZL13mul_mat_f_idsIfLi64ELi3ELi3EEvPKT_PKfPKiS6_S6_Pfiiiiiiiiiiiiii15HIP_vector_typeIjLj3EES9_
	.p2align	8
	.type	_ZL13mul_mat_f_idsIfLi64ELi3ELi3EEvPKT_PKfPKiS6_S6_Pfiiiiiiiiiiiiii15HIP_vector_typeIjLj3EES9_,@function
_ZL13mul_mat_f_idsIfLi64ELi3ELi3EEvPKT_PKfPKiS6_S6_Pfiiiiiiiiiiiiii15HIP_vector_typeIjLj3EES9_: ; @_ZL13mul_mat_f_idsIfLi64ELi3ELi3EEvPKT_PKfPKiS6_S6_Pfiiiiiiiiiiiiii15HIP_vector_typeIjLj3EES9_
; %bb.0:
	s_add_u32 s0, s0, s7
	s_addc_u32 s1, s1, 0
	s_add_u32 s8, s4, 0x80
	s_addc_u32 s9, s5, 0
	s_getpc_b64 s[4:5]
	s_add_u32 s4, s4, __FUNCTION__._ZL13mul_mat_f_idsIfLi32ELi3ELi1EEvPKT_PKfPKiS6_S6_Pfiiiiiiiiiiiiii15HIP_vector_typeIjLj3EES9_@rel32@lo+4
	s_addc_u32 s5, s5, __FUNCTION__._ZL13mul_mat_f_idsIfLi32ELi3ELi1EEvPKT_PKfPKiS6_S6_Pfiiiiiiiiiiiiii15HIP_vector_typeIjLj3EES9_@rel32@hi+12
	s_getpc_b64 s[6:7]
	s_add_u32 s6, s6, _ZL14no_device_codePKciS0_iS0_@rel32@lo+4
	s_addc_u32 s7, s7, _ZL14no_device_codePKciS0_iS0_@rel32@hi+12
	v_mov_b32_e32 v0, 0x238
	v_mov_b32_e32 v1, s4
	;; [unrolled: 1-line block ×3, first 2 shown]
	s_mov_b32 s32, 0
	s_swappc_b64 s[30:31], s[6:7]
	.section	.rodata,"a",@progbits
	.p2align	6, 0x0
	.amdhsa_kernel _ZL13mul_mat_f_idsIfLi64ELi3ELi3EEvPKT_PKfPKiS6_S6_Pfiiiiiiiiiiiiii15HIP_vector_typeIjLj3EES9_
		.amdhsa_group_segment_fixed_size 0
		.amdhsa_private_segment_fixed_size 16
		.amdhsa_kernarg_size 384
		.amdhsa_user_sgpr_count 6
		.amdhsa_user_sgpr_private_segment_buffer 1
		.amdhsa_user_sgpr_dispatch_ptr 0
		.amdhsa_user_sgpr_queue_ptr 0
		.amdhsa_user_sgpr_kernarg_segment_ptr 1
		.amdhsa_user_sgpr_dispatch_id 0
		.amdhsa_user_sgpr_flat_scratch_init 0
		.amdhsa_user_sgpr_private_segment_size 0
		.amdhsa_uses_dynamic_stack 0
		.amdhsa_system_sgpr_private_segment_wavefront_offset 1
		.amdhsa_system_sgpr_workgroup_id_x 1
		.amdhsa_system_sgpr_workgroup_id_y 0
		.amdhsa_system_sgpr_workgroup_id_z 0
		.amdhsa_system_sgpr_workgroup_info 0
		.amdhsa_system_vgpr_workitem_id 0
		.amdhsa_next_free_vgpr 38
		.amdhsa_next_free_sgpr 34
		.amdhsa_reserve_vcc 1
		.amdhsa_reserve_flat_scratch 0
		.amdhsa_float_round_mode_32 0
		.amdhsa_float_round_mode_16_64 0
		.amdhsa_float_denorm_mode_32 3
		.amdhsa_float_denorm_mode_16_64 3
		.amdhsa_dx10_clamp 1
		.amdhsa_ieee_mode 1
		.amdhsa_fp16_overflow 0
		.amdhsa_exception_fp_ieee_invalid_op 0
		.amdhsa_exception_fp_denorm_src 0
		.amdhsa_exception_fp_ieee_div_zero 0
		.amdhsa_exception_fp_ieee_overflow 0
		.amdhsa_exception_fp_ieee_underflow 0
		.amdhsa_exception_fp_ieee_inexact 0
		.amdhsa_exception_int_div_zero 0
	.end_amdhsa_kernel
	.section	.text._ZL13mul_mat_f_idsIfLi64ELi3ELi3EEvPKT_PKfPKiS6_S6_Pfiiiiiiiiiiiiii15HIP_vector_typeIjLj3EES9_,"axG",@progbits,_ZL13mul_mat_f_idsIfLi64ELi3ELi3EEvPKT_PKfPKiS6_S6_Pfiiiiiiiiiiiiii15HIP_vector_typeIjLj3EES9_,comdat
.Lfunc_end81:
	.size	_ZL13mul_mat_f_idsIfLi64ELi3ELi3EEvPKT_PKfPKiS6_S6_Pfiiiiiiiiiiiiii15HIP_vector_typeIjLj3EES9_, .Lfunc_end81-_ZL13mul_mat_f_idsIfLi64ELi3ELi3EEvPKT_PKfPKiS6_S6_Pfiiiiiiiiiiiiii15HIP_vector_typeIjLj3EES9_
                                        ; -- End function
	.set _ZL13mul_mat_f_idsIfLi64ELi3ELi3EEvPKT_PKfPKiS6_S6_Pfiiiiiiiiiiiiii15HIP_vector_typeIjLj3EES9_.num_vgpr, max(3, .L_ZL14no_device_codePKciS0_iS0_.num_vgpr)
	.set _ZL13mul_mat_f_idsIfLi64ELi3ELi3EEvPKT_PKfPKiS6_S6_Pfiiiiiiiiiiiiii15HIP_vector_typeIjLj3EES9_.num_agpr, max(0, .L_ZL14no_device_codePKciS0_iS0_.num_agpr)
	.set _ZL13mul_mat_f_idsIfLi64ELi3ELi3EEvPKT_PKfPKiS6_S6_Pfiiiiiiiiiiiiii15HIP_vector_typeIjLj3EES9_.numbered_sgpr, max(33, .L_ZL14no_device_codePKciS0_iS0_.numbered_sgpr)
	.set _ZL13mul_mat_f_idsIfLi64ELi3ELi3EEvPKT_PKfPKiS6_S6_Pfiiiiiiiiiiiiii15HIP_vector_typeIjLj3EES9_.num_named_barrier, max(0, .L_ZL14no_device_codePKciS0_iS0_.num_named_barrier)
	.set _ZL13mul_mat_f_idsIfLi64ELi3ELi3EEvPKT_PKfPKiS6_S6_Pfiiiiiiiiiiiiii15HIP_vector_typeIjLj3EES9_.private_seg_size, 0+max(.L_ZL14no_device_codePKciS0_iS0_.private_seg_size)
	.set _ZL13mul_mat_f_idsIfLi64ELi3ELi3EEvPKT_PKfPKiS6_S6_Pfiiiiiiiiiiiiii15HIP_vector_typeIjLj3EES9_.uses_vcc, or(1, .L_ZL14no_device_codePKciS0_iS0_.uses_vcc)
	.set _ZL13mul_mat_f_idsIfLi64ELi3ELi3EEvPKT_PKfPKiS6_S6_Pfiiiiiiiiiiiiii15HIP_vector_typeIjLj3EES9_.uses_flat_scratch, or(0, .L_ZL14no_device_codePKciS0_iS0_.uses_flat_scratch)
	.set _ZL13mul_mat_f_idsIfLi64ELi3ELi3EEvPKT_PKfPKiS6_S6_Pfiiiiiiiiiiiiii15HIP_vector_typeIjLj3EES9_.has_dyn_sized_stack, or(0, .L_ZL14no_device_codePKciS0_iS0_.has_dyn_sized_stack)
	.set _ZL13mul_mat_f_idsIfLi64ELi3ELi3EEvPKT_PKfPKiS6_S6_Pfiiiiiiiiiiiiii15HIP_vector_typeIjLj3EES9_.has_recursion, or(0, .L_ZL14no_device_codePKciS0_iS0_.has_recursion)
	.set _ZL13mul_mat_f_idsIfLi64ELi3ELi3EEvPKT_PKfPKiS6_S6_Pfiiiiiiiiiiiiii15HIP_vector_typeIjLj3EES9_.has_indirect_call, or(0, .L_ZL14no_device_codePKciS0_iS0_.has_indirect_call)
	.section	.AMDGPU.csdata,"",@progbits
; Kernel info:
; codeLenInByte = 84
; TotalNumSgprs: 38
; NumVgprs: 38
; ScratchSize: 16
; MemoryBound: 0
; FloatMode: 240
; IeeeMode: 1
; LDSByteSize: 0 bytes/workgroup (compile time only)
; SGPRBlocks: 4
; VGPRBlocks: 9
; NumSGPRsForWavesPerEU: 38
; NumVGPRsForWavesPerEU: 38
; Occupancy: 6
; WaveLimiterHint : 1
; COMPUTE_PGM_RSRC2:SCRATCH_EN: 1
; COMPUTE_PGM_RSRC2:USER_SGPR: 6
; COMPUTE_PGM_RSRC2:TRAP_HANDLER: 0
; COMPUTE_PGM_RSRC2:TGID_X_EN: 1
; COMPUTE_PGM_RSRC2:TGID_Y_EN: 0
; COMPUTE_PGM_RSRC2:TGID_Z_EN: 0
; COMPUTE_PGM_RSRC2:TIDIG_COMP_CNT: 0
	.section	.text._ZL9mul_mat_fIfLi64ELi3ELi3ELb1EEvPKT_PKfPKiPfiiiiiiiiiiiiiiii,"axG",@progbits,_ZL9mul_mat_fIfLi64ELi3ELi3ELb1EEvPKT_PKfPKiPfiiiiiiiiiiiiiiii,comdat
	.globl	_ZL9mul_mat_fIfLi64ELi3ELi3ELb1EEvPKT_PKfPKiPfiiiiiiiiiiiiiiii ; -- Begin function _ZL9mul_mat_fIfLi64ELi3ELi3ELb1EEvPKT_PKfPKiPfiiiiiiiiiiiiiiii
	.p2align	8
	.type	_ZL9mul_mat_fIfLi64ELi3ELi3ELb1EEvPKT_PKfPKiPfiiiiiiiiiiiiiiii,@function
_ZL9mul_mat_fIfLi64ELi3ELi3ELb1EEvPKT_PKfPKiPfiiiiiiiiiiiiiiii: ; @_ZL9mul_mat_fIfLi64ELi3ELi3ELb1EEvPKT_PKfPKiPfiiiiiiiiiiiiiiii
; %bb.0:
	s_add_u32 s0, s0, s7
	s_addc_u32 s1, s1, 0
	s_add_u32 s8, s4, 0x60
	s_addc_u32 s9, s5, 0
	s_getpc_b64 s[4:5]
	s_add_u32 s4, s4, __FUNCTION__._ZL9mul_mat_fIfLi32ELi3ELi1ELb1EEvPKT_PKfPKiPfiiiiiiiiiiiiiiii@rel32@lo+4
	s_addc_u32 s5, s5, __FUNCTION__._ZL9mul_mat_fIfLi32ELi3ELi1ELb1EEvPKT_PKfPKiPfiiiiiiiiiiiiiiii@rel32@hi+12
	s_getpc_b64 s[6:7]
	s_add_u32 s6, s6, _ZL14no_device_codePKciS0_iS0_@rel32@lo+4
	s_addc_u32 s7, s7, _ZL14no_device_codePKciS0_iS0_@rel32@hi+12
	v_mov_b32_e32 v0, 0x124
	v_mov_b32_e32 v1, s4
	;; [unrolled: 1-line block ×3, first 2 shown]
	s_mov_b32 s32, 0
	s_swappc_b64 s[30:31], s[6:7]
	.section	.rodata,"a",@progbits
	.p2align	6, 0x0
	.amdhsa_kernel _ZL9mul_mat_fIfLi64ELi3ELi3ELb1EEvPKT_PKfPKiPfiiiiiiiiiiiiiiii
		.amdhsa_group_segment_fixed_size 0
		.amdhsa_private_segment_fixed_size 16
		.amdhsa_kernarg_size 352
		.amdhsa_user_sgpr_count 6
		.amdhsa_user_sgpr_private_segment_buffer 1
		.amdhsa_user_sgpr_dispatch_ptr 0
		.amdhsa_user_sgpr_queue_ptr 0
		.amdhsa_user_sgpr_kernarg_segment_ptr 1
		.amdhsa_user_sgpr_dispatch_id 0
		.amdhsa_user_sgpr_flat_scratch_init 0
		.amdhsa_user_sgpr_private_segment_size 0
		.amdhsa_uses_dynamic_stack 0
		.amdhsa_system_sgpr_private_segment_wavefront_offset 1
		.amdhsa_system_sgpr_workgroup_id_x 1
		.amdhsa_system_sgpr_workgroup_id_y 0
		.amdhsa_system_sgpr_workgroup_id_z 0
		.amdhsa_system_sgpr_workgroup_info 0
		.amdhsa_system_vgpr_workitem_id 0
		.amdhsa_next_free_vgpr 38
		.amdhsa_next_free_sgpr 34
		.amdhsa_reserve_vcc 1
		.amdhsa_reserve_flat_scratch 0
		.amdhsa_float_round_mode_32 0
		.amdhsa_float_round_mode_16_64 0
		.amdhsa_float_denorm_mode_32 3
		.amdhsa_float_denorm_mode_16_64 3
		.amdhsa_dx10_clamp 1
		.amdhsa_ieee_mode 1
		.amdhsa_fp16_overflow 0
		.amdhsa_exception_fp_ieee_invalid_op 0
		.amdhsa_exception_fp_denorm_src 0
		.amdhsa_exception_fp_ieee_div_zero 0
		.amdhsa_exception_fp_ieee_overflow 0
		.amdhsa_exception_fp_ieee_underflow 0
		.amdhsa_exception_fp_ieee_inexact 0
		.amdhsa_exception_int_div_zero 0
	.end_amdhsa_kernel
	.section	.text._ZL9mul_mat_fIfLi64ELi3ELi3ELb1EEvPKT_PKfPKiPfiiiiiiiiiiiiiiii,"axG",@progbits,_ZL9mul_mat_fIfLi64ELi3ELi3ELb1EEvPKT_PKfPKiPfiiiiiiiiiiiiiiii,comdat
.Lfunc_end82:
	.size	_ZL9mul_mat_fIfLi64ELi3ELi3ELb1EEvPKT_PKfPKiPfiiiiiiiiiiiiiiii, .Lfunc_end82-_ZL9mul_mat_fIfLi64ELi3ELi3ELb1EEvPKT_PKfPKiPfiiiiiiiiiiiiiiii
                                        ; -- End function
	.set _ZL9mul_mat_fIfLi64ELi3ELi3ELb1EEvPKT_PKfPKiPfiiiiiiiiiiiiiiii.num_vgpr, max(3, .L_ZL14no_device_codePKciS0_iS0_.num_vgpr)
	.set _ZL9mul_mat_fIfLi64ELi3ELi3ELb1EEvPKT_PKfPKiPfiiiiiiiiiiiiiiii.num_agpr, max(0, .L_ZL14no_device_codePKciS0_iS0_.num_agpr)
	.set _ZL9mul_mat_fIfLi64ELi3ELi3ELb1EEvPKT_PKfPKiPfiiiiiiiiiiiiiiii.numbered_sgpr, max(33, .L_ZL14no_device_codePKciS0_iS0_.numbered_sgpr)
	.set _ZL9mul_mat_fIfLi64ELi3ELi3ELb1EEvPKT_PKfPKiPfiiiiiiiiiiiiiiii.num_named_barrier, max(0, .L_ZL14no_device_codePKciS0_iS0_.num_named_barrier)
	.set _ZL9mul_mat_fIfLi64ELi3ELi3ELb1EEvPKT_PKfPKiPfiiiiiiiiiiiiiiii.private_seg_size, 0+max(.L_ZL14no_device_codePKciS0_iS0_.private_seg_size)
	.set _ZL9mul_mat_fIfLi64ELi3ELi3ELb1EEvPKT_PKfPKiPfiiiiiiiiiiiiiiii.uses_vcc, or(1, .L_ZL14no_device_codePKciS0_iS0_.uses_vcc)
	.set _ZL9mul_mat_fIfLi64ELi3ELi3ELb1EEvPKT_PKfPKiPfiiiiiiiiiiiiiiii.uses_flat_scratch, or(0, .L_ZL14no_device_codePKciS0_iS0_.uses_flat_scratch)
	.set _ZL9mul_mat_fIfLi64ELi3ELi3ELb1EEvPKT_PKfPKiPfiiiiiiiiiiiiiiii.has_dyn_sized_stack, or(0, .L_ZL14no_device_codePKciS0_iS0_.has_dyn_sized_stack)
	.set _ZL9mul_mat_fIfLi64ELi3ELi3ELb1EEvPKT_PKfPKiPfiiiiiiiiiiiiiiii.has_recursion, or(0, .L_ZL14no_device_codePKciS0_iS0_.has_recursion)
	.set _ZL9mul_mat_fIfLi64ELi3ELi3ELb1EEvPKT_PKfPKiPfiiiiiiiiiiiiiiii.has_indirect_call, or(0, .L_ZL14no_device_codePKciS0_iS0_.has_indirect_call)
	.section	.AMDGPU.csdata,"",@progbits
; Kernel info:
; codeLenInByte = 84
; TotalNumSgprs: 38
; NumVgprs: 38
; ScratchSize: 16
; MemoryBound: 0
; FloatMode: 240
; IeeeMode: 1
; LDSByteSize: 0 bytes/workgroup (compile time only)
; SGPRBlocks: 4
; VGPRBlocks: 9
; NumSGPRsForWavesPerEU: 38
; NumVGPRsForWavesPerEU: 38
; Occupancy: 6
; WaveLimiterHint : 1
; COMPUTE_PGM_RSRC2:SCRATCH_EN: 1
; COMPUTE_PGM_RSRC2:USER_SGPR: 6
; COMPUTE_PGM_RSRC2:TRAP_HANDLER: 0
; COMPUTE_PGM_RSRC2:TGID_X_EN: 1
; COMPUTE_PGM_RSRC2:TGID_Y_EN: 0
; COMPUTE_PGM_RSRC2:TGID_Z_EN: 0
; COMPUTE_PGM_RSRC2:TIDIG_COMP_CNT: 0
	.section	.text._ZL9mul_mat_fIfLi64ELi3ELi3ELb0EEvPKT_PKfPKiPfiiiiiiiiiiiiiiii,"axG",@progbits,_ZL9mul_mat_fIfLi64ELi3ELi3ELb0EEvPKT_PKfPKiPfiiiiiiiiiiiiiiii,comdat
	.globl	_ZL9mul_mat_fIfLi64ELi3ELi3ELb0EEvPKT_PKfPKiPfiiiiiiiiiiiiiiii ; -- Begin function _ZL9mul_mat_fIfLi64ELi3ELi3ELb0EEvPKT_PKfPKiPfiiiiiiiiiiiiiiii
	.p2align	8
	.type	_ZL9mul_mat_fIfLi64ELi3ELi3ELb0EEvPKT_PKfPKiPfiiiiiiiiiiiiiiii,@function
_ZL9mul_mat_fIfLi64ELi3ELi3ELb0EEvPKT_PKfPKiPfiiiiiiiiiiiiiiii: ; @_ZL9mul_mat_fIfLi64ELi3ELi3ELb0EEvPKT_PKfPKiPfiiiiiiiiiiiiiiii
; %bb.0:
	s_add_u32 s0, s0, s7
	s_addc_u32 s1, s1, 0
	s_add_u32 s8, s4, 0x60
	s_addc_u32 s9, s5, 0
	s_getpc_b64 s[4:5]
	s_add_u32 s4, s4, __FUNCTION__._ZL9mul_mat_fIfLi32ELi3ELi1ELb1EEvPKT_PKfPKiPfiiiiiiiiiiiiiiii@rel32@lo+4
	s_addc_u32 s5, s5, __FUNCTION__._ZL9mul_mat_fIfLi32ELi3ELi1ELb1EEvPKT_PKfPKiPfiiiiiiiiiiiiiiii@rel32@hi+12
	s_getpc_b64 s[6:7]
	s_add_u32 s6, s6, _ZL14no_device_codePKciS0_iS0_@rel32@lo+4
	s_addc_u32 s7, s7, _ZL14no_device_codePKciS0_iS0_@rel32@hi+12
	v_mov_b32_e32 v0, 0x124
	v_mov_b32_e32 v1, s4
	;; [unrolled: 1-line block ×3, first 2 shown]
	s_mov_b32 s32, 0
	s_swappc_b64 s[30:31], s[6:7]
	.section	.rodata,"a",@progbits
	.p2align	6, 0x0
	.amdhsa_kernel _ZL9mul_mat_fIfLi64ELi3ELi3ELb0EEvPKT_PKfPKiPfiiiiiiiiiiiiiiii
		.amdhsa_group_segment_fixed_size 0
		.amdhsa_private_segment_fixed_size 16
		.amdhsa_kernarg_size 352
		.amdhsa_user_sgpr_count 6
		.amdhsa_user_sgpr_private_segment_buffer 1
		.amdhsa_user_sgpr_dispatch_ptr 0
		.amdhsa_user_sgpr_queue_ptr 0
		.amdhsa_user_sgpr_kernarg_segment_ptr 1
		.amdhsa_user_sgpr_dispatch_id 0
		.amdhsa_user_sgpr_flat_scratch_init 0
		.amdhsa_user_sgpr_private_segment_size 0
		.amdhsa_uses_dynamic_stack 0
		.amdhsa_system_sgpr_private_segment_wavefront_offset 1
		.amdhsa_system_sgpr_workgroup_id_x 1
		.amdhsa_system_sgpr_workgroup_id_y 0
		.amdhsa_system_sgpr_workgroup_id_z 0
		.amdhsa_system_sgpr_workgroup_info 0
		.amdhsa_system_vgpr_workitem_id 0
		.amdhsa_next_free_vgpr 38
		.amdhsa_next_free_sgpr 34
		.amdhsa_reserve_vcc 1
		.amdhsa_reserve_flat_scratch 0
		.amdhsa_float_round_mode_32 0
		.amdhsa_float_round_mode_16_64 0
		.amdhsa_float_denorm_mode_32 3
		.amdhsa_float_denorm_mode_16_64 3
		.amdhsa_dx10_clamp 1
		.amdhsa_ieee_mode 1
		.amdhsa_fp16_overflow 0
		.amdhsa_exception_fp_ieee_invalid_op 0
		.amdhsa_exception_fp_denorm_src 0
		.amdhsa_exception_fp_ieee_div_zero 0
		.amdhsa_exception_fp_ieee_overflow 0
		.amdhsa_exception_fp_ieee_underflow 0
		.amdhsa_exception_fp_ieee_inexact 0
		.amdhsa_exception_int_div_zero 0
	.end_amdhsa_kernel
	.section	.text._ZL9mul_mat_fIfLi64ELi3ELi3ELb0EEvPKT_PKfPKiPfiiiiiiiiiiiiiiii,"axG",@progbits,_ZL9mul_mat_fIfLi64ELi3ELi3ELb0EEvPKT_PKfPKiPfiiiiiiiiiiiiiiii,comdat
.Lfunc_end83:
	.size	_ZL9mul_mat_fIfLi64ELi3ELi3ELb0EEvPKT_PKfPKiPfiiiiiiiiiiiiiiii, .Lfunc_end83-_ZL9mul_mat_fIfLi64ELi3ELi3ELb0EEvPKT_PKfPKiPfiiiiiiiiiiiiiiii
                                        ; -- End function
	.set _ZL9mul_mat_fIfLi64ELi3ELi3ELb0EEvPKT_PKfPKiPfiiiiiiiiiiiiiiii.num_vgpr, max(3, .L_ZL14no_device_codePKciS0_iS0_.num_vgpr)
	.set _ZL9mul_mat_fIfLi64ELi3ELi3ELb0EEvPKT_PKfPKiPfiiiiiiiiiiiiiiii.num_agpr, max(0, .L_ZL14no_device_codePKciS0_iS0_.num_agpr)
	.set _ZL9mul_mat_fIfLi64ELi3ELi3ELb0EEvPKT_PKfPKiPfiiiiiiiiiiiiiiii.numbered_sgpr, max(33, .L_ZL14no_device_codePKciS0_iS0_.numbered_sgpr)
	.set _ZL9mul_mat_fIfLi64ELi3ELi3ELb0EEvPKT_PKfPKiPfiiiiiiiiiiiiiiii.num_named_barrier, max(0, .L_ZL14no_device_codePKciS0_iS0_.num_named_barrier)
	.set _ZL9mul_mat_fIfLi64ELi3ELi3ELb0EEvPKT_PKfPKiPfiiiiiiiiiiiiiiii.private_seg_size, 0+max(.L_ZL14no_device_codePKciS0_iS0_.private_seg_size)
	.set _ZL9mul_mat_fIfLi64ELi3ELi3ELb0EEvPKT_PKfPKiPfiiiiiiiiiiiiiiii.uses_vcc, or(1, .L_ZL14no_device_codePKciS0_iS0_.uses_vcc)
	.set _ZL9mul_mat_fIfLi64ELi3ELi3ELb0EEvPKT_PKfPKiPfiiiiiiiiiiiiiiii.uses_flat_scratch, or(0, .L_ZL14no_device_codePKciS0_iS0_.uses_flat_scratch)
	.set _ZL9mul_mat_fIfLi64ELi3ELi3ELb0EEvPKT_PKfPKiPfiiiiiiiiiiiiiiii.has_dyn_sized_stack, or(0, .L_ZL14no_device_codePKciS0_iS0_.has_dyn_sized_stack)
	.set _ZL9mul_mat_fIfLi64ELi3ELi3ELb0EEvPKT_PKfPKiPfiiiiiiiiiiiiiiii.has_recursion, or(0, .L_ZL14no_device_codePKciS0_iS0_.has_recursion)
	.set _ZL9mul_mat_fIfLi64ELi3ELi3ELb0EEvPKT_PKfPKiPfiiiiiiiiiiiiiiii.has_indirect_call, or(0, .L_ZL14no_device_codePKciS0_iS0_.has_indirect_call)
	.section	.AMDGPU.csdata,"",@progbits
; Kernel info:
; codeLenInByte = 84
; TotalNumSgprs: 38
; NumVgprs: 38
; ScratchSize: 16
; MemoryBound: 0
; FloatMode: 240
; IeeeMode: 1
; LDSByteSize: 0 bytes/workgroup (compile time only)
; SGPRBlocks: 4
; VGPRBlocks: 9
; NumSGPRsForWavesPerEU: 38
; NumVGPRsForWavesPerEU: 38
; Occupancy: 6
; WaveLimiterHint : 1
; COMPUTE_PGM_RSRC2:SCRATCH_EN: 1
; COMPUTE_PGM_RSRC2:USER_SGPR: 6
; COMPUTE_PGM_RSRC2:TRAP_HANDLER: 0
; COMPUTE_PGM_RSRC2:TGID_X_EN: 1
; COMPUTE_PGM_RSRC2:TGID_Y_EN: 0
; COMPUTE_PGM_RSRC2:TGID_Z_EN: 0
; COMPUTE_PGM_RSRC2:TIDIG_COMP_CNT: 0
	.section	.text._ZL13mul_mat_f_idsIfLi64ELi3ELi4EEvPKT_PKfPKiS6_S6_Pfiiiiiiiiiiiiii15HIP_vector_typeIjLj3EES9_,"axG",@progbits,_ZL13mul_mat_f_idsIfLi64ELi3ELi4EEvPKT_PKfPKiS6_S6_Pfiiiiiiiiiiiiii15HIP_vector_typeIjLj3EES9_,comdat
	.globl	_ZL13mul_mat_f_idsIfLi64ELi3ELi4EEvPKT_PKfPKiS6_S6_Pfiiiiiiiiiiiiii15HIP_vector_typeIjLj3EES9_ ; -- Begin function _ZL13mul_mat_f_idsIfLi64ELi3ELi4EEvPKT_PKfPKiS6_S6_Pfiiiiiiiiiiiiii15HIP_vector_typeIjLj3EES9_
	.p2align	8
	.type	_ZL13mul_mat_f_idsIfLi64ELi3ELi4EEvPKT_PKfPKiS6_S6_Pfiiiiiiiiiiiiii15HIP_vector_typeIjLj3EES9_,@function
_ZL13mul_mat_f_idsIfLi64ELi3ELi4EEvPKT_PKfPKiS6_S6_Pfiiiiiiiiiiiiii15HIP_vector_typeIjLj3EES9_: ; @_ZL13mul_mat_f_idsIfLi64ELi3ELi4EEvPKT_PKfPKiS6_S6_Pfiiiiiiiiiiiiii15HIP_vector_typeIjLj3EES9_
; %bb.0:
	s_add_u32 s0, s0, s7
	s_addc_u32 s1, s1, 0
	s_add_u32 s8, s4, 0x80
	s_addc_u32 s9, s5, 0
	s_getpc_b64 s[4:5]
	s_add_u32 s4, s4, __FUNCTION__._ZL13mul_mat_f_idsIfLi32ELi3ELi1EEvPKT_PKfPKiS6_S6_Pfiiiiiiiiiiiiii15HIP_vector_typeIjLj3EES9_@rel32@lo+4
	s_addc_u32 s5, s5, __FUNCTION__._ZL13mul_mat_f_idsIfLi32ELi3ELi1EEvPKT_PKfPKiS6_S6_Pfiiiiiiiiiiiiii15HIP_vector_typeIjLj3EES9_@rel32@hi+12
	s_getpc_b64 s[6:7]
	s_add_u32 s6, s6, _ZL14no_device_codePKciS0_iS0_@rel32@lo+4
	s_addc_u32 s7, s7, _ZL14no_device_codePKciS0_iS0_@rel32@hi+12
	v_mov_b32_e32 v0, 0x238
	v_mov_b32_e32 v1, s4
	v_mov_b32_e32 v2, s5
	s_mov_b32 s32, 0
	s_swappc_b64 s[30:31], s[6:7]
	.section	.rodata,"a",@progbits
	.p2align	6, 0x0
	.amdhsa_kernel _ZL13mul_mat_f_idsIfLi64ELi3ELi4EEvPKT_PKfPKiS6_S6_Pfiiiiiiiiiiiiii15HIP_vector_typeIjLj3EES9_
		.amdhsa_group_segment_fixed_size 0
		.amdhsa_private_segment_fixed_size 16
		.amdhsa_kernarg_size 384
		.amdhsa_user_sgpr_count 6
		.amdhsa_user_sgpr_private_segment_buffer 1
		.amdhsa_user_sgpr_dispatch_ptr 0
		.amdhsa_user_sgpr_queue_ptr 0
		.amdhsa_user_sgpr_kernarg_segment_ptr 1
		.amdhsa_user_sgpr_dispatch_id 0
		.amdhsa_user_sgpr_flat_scratch_init 0
		.amdhsa_user_sgpr_private_segment_size 0
		.amdhsa_uses_dynamic_stack 0
		.amdhsa_system_sgpr_private_segment_wavefront_offset 1
		.amdhsa_system_sgpr_workgroup_id_x 1
		.amdhsa_system_sgpr_workgroup_id_y 0
		.amdhsa_system_sgpr_workgroup_id_z 0
		.amdhsa_system_sgpr_workgroup_info 0
		.amdhsa_system_vgpr_workitem_id 0
		.amdhsa_next_free_vgpr 38
		.amdhsa_next_free_sgpr 34
		.amdhsa_reserve_vcc 1
		.amdhsa_reserve_flat_scratch 0
		.amdhsa_float_round_mode_32 0
		.amdhsa_float_round_mode_16_64 0
		.amdhsa_float_denorm_mode_32 3
		.amdhsa_float_denorm_mode_16_64 3
		.amdhsa_dx10_clamp 1
		.amdhsa_ieee_mode 1
		.amdhsa_fp16_overflow 0
		.amdhsa_exception_fp_ieee_invalid_op 0
		.amdhsa_exception_fp_denorm_src 0
		.amdhsa_exception_fp_ieee_div_zero 0
		.amdhsa_exception_fp_ieee_overflow 0
		.amdhsa_exception_fp_ieee_underflow 0
		.amdhsa_exception_fp_ieee_inexact 0
		.amdhsa_exception_int_div_zero 0
	.end_amdhsa_kernel
	.section	.text._ZL13mul_mat_f_idsIfLi64ELi3ELi4EEvPKT_PKfPKiS6_S6_Pfiiiiiiiiiiiiii15HIP_vector_typeIjLj3EES9_,"axG",@progbits,_ZL13mul_mat_f_idsIfLi64ELi3ELi4EEvPKT_PKfPKiS6_S6_Pfiiiiiiiiiiiiii15HIP_vector_typeIjLj3EES9_,comdat
.Lfunc_end84:
	.size	_ZL13mul_mat_f_idsIfLi64ELi3ELi4EEvPKT_PKfPKiS6_S6_Pfiiiiiiiiiiiiii15HIP_vector_typeIjLj3EES9_, .Lfunc_end84-_ZL13mul_mat_f_idsIfLi64ELi3ELi4EEvPKT_PKfPKiS6_S6_Pfiiiiiiiiiiiiii15HIP_vector_typeIjLj3EES9_
                                        ; -- End function
	.set _ZL13mul_mat_f_idsIfLi64ELi3ELi4EEvPKT_PKfPKiS6_S6_Pfiiiiiiiiiiiiii15HIP_vector_typeIjLj3EES9_.num_vgpr, max(3, .L_ZL14no_device_codePKciS0_iS0_.num_vgpr)
	.set _ZL13mul_mat_f_idsIfLi64ELi3ELi4EEvPKT_PKfPKiS6_S6_Pfiiiiiiiiiiiiii15HIP_vector_typeIjLj3EES9_.num_agpr, max(0, .L_ZL14no_device_codePKciS0_iS0_.num_agpr)
	.set _ZL13mul_mat_f_idsIfLi64ELi3ELi4EEvPKT_PKfPKiS6_S6_Pfiiiiiiiiiiiiii15HIP_vector_typeIjLj3EES9_.numbered_sgpr, max(33, .L_ZL14no_device_codePKciS0_iS0_.numbered_sgpr)
	.set _ZL13mul_mat_f_idsIfLi64ELi3ELi4EEvPKT_PKfPKiS6_S6_Pfiiiiiiiiiiiiii15HIP_vector_typeIjLj3EES9_.num_named_barrier, max(0, .L_ZL14no_device_codePKciS0_iS0_.num_named_barrier)
	.set _ZL13mul_mat_f_idsIfLi64ELi3ELi4EEvPKT_PKfPKiS6_S6_Pfiiiiiiiiiiiiii15HIP_vector_typeIjLj3EES9_.private_seg_size, 0+max(.L_ZL14no_device_codePKciS0_iS0_.private_seg_size)
	.set _ZL13mul_mat_f_idsIfLi64ELi3ELi4EEvPKT_PKfPKiS6_S6_Pfiiiiiiiiiiiiii15HIP_vector_typeIjLj3EES9_.uses_vcc, or(1, .L_ZL14no_device_codePKciS0_iS0_.uses_vcc)
	.set _ZL13mul_mat_f_idsIfLi64ELi3ELi4EEvPKT_PKfPKiS6_S6_Pfiiiiiiiiiiiiii15HIP_vector_typeIjLj3EES9_.uses_flat_scratch, or(0, .L_ZL14no_device_codePKciS0_iS0_.uses_flat_scratch)
	.set _ZL13mul_mat_f_idsIfLi64ELi3ELi4EEvPKT_PKfPKiS6_S6_Pfiiiiiiiiiiiiii15HIP_vector_typeIjLj3EES9_.has_dyn_sized_stack, or(0, .L_ZL14no_device_codePKciS0_iS0_.has_dyn_sized_stack)
	.set _ZL13mul_mat_f_idsIfLi64ELi3ELi4EEvPKT_PKfPKiS6_S6_Pfiiiiiiiiiiiiii15HIP_vector_typeIjLj3EES9_.has_recursion, or(0, .L_ZL14no_device_codePKciS0_iS0_.has_recursion)
	.set _ZL13mul_mat_f_idsIfLi64ELi3ELi4EEvPKT_PKfPKiS6_S6_Pfiiiiiiiiiiiiii15HIP_vector_typeIjLj3EES9_.has_indirect_call, or(0, .L_ZL14no_device_codePKciS0_iS0_.has_indirect_call)
	.section	.AMDGPU.csdata,"",@progbits
; Kernel info:
; codeLenInByte = 84
; TotalNumSgprs: 38
; NumVgprs: 38
; ScratchSize: 16
; MemoryBound: 0
; FloatMode: 240
; IeeeMode: 1
; LDSByteSize: 0 bytes/workgroup (compile time only)
; SGPRBlocks: 4
; VGPRBlocks: 9
; NumSGPRsForWavesPerEU: 38
; NumVGPRsForWavesPerEU: 38
; Occupancy: 6
; WaveLimiterHint : 1
; COMPUTE_PGM_RSRC2:SCRATCH_EN: 1
; COMPUTE_PGM_RSRC2:USER_SGPR: 6
; COMPUTE_PGM_RSRC2:TRAP_HANDLER: 0
; COMPUTE_PGM_RSRC2:TGID_X_EN: 1
; COMPUTE_PGM_RSRC2:TGID_Y_EN: 0
; COMPUTE_PGM_RSRC2:TGID_Z_EN: 0
; COMPUTE_PGM_RSRC2:TIDIG_COMP_CNT: 0
	.section	.text._ZL9mul_mat_fIfLi64ELi3ELi4ELb1EEvPKT_PKfPKiPfiiiiiiiiiiiiiiii,"axG",@progbits,_ZL9mul_mat_fIfLi64ELi3ELi4ELb1EEvPKT_PKfPKiPfiiiiiiiiiiiiiiii,comdat
	.globl	_ZL9mul_mat_fIfLi64ELi3ELi4ELb1EEvPKT_PKfPKiPfiiiiiiiiiiiiiiii ; -- Begin function _ZL9mul_mat_fIfLi64ELi3ELi4ELb1EEvPKT_PKfPKiPfiiiiiiiiiiiiiiii
	.p2align	8
	.type	_ZL9mul_mat_fIfLi64ELi3ELi4ELb1EEvPKT_PKfPKiPfiiiiiiiiiiiiiiii,@function
_ZL9mul_mat_fIfLi64ELi3ELi4ELb1EEvPKT_PKfPKiPfiiiiiiiiiiiiiiii: ; @_ZL9mul_mat_fIfLi64ELi3ELi4ELb1EEvPKT_PKfPKiPfiiiiiiiiiiiiiiii
; %bb.0:
	s_add_u32 s0, s0, s7
	s_addc_u32 s1, s1, 0
	s_add_u32 s8, s4, 0x60
	s_addc_u32 s9, s5, 0
	s_getpc_b64 s[4:5]
	s_add_u32 s4, s4, __FUNCTION__._ZL9mul_mat_fIfLi32ELi3ELi1ELb1EEvPKT_PKfPKiPfiiiiiiiiiiiiiiii@rel32@lo+4
	s_addc_u32 s5, s5, __FUNCTION__._ZL9mul_mat_fIfLi32ELi3ELi1ELb1EEvPKT_PKfPKiPfiiiiiiiiiiiiiiii@rel32@hi+12
	s_getpc_b64 s[6:7]
	s_add_u32 s6, s6, _ZL14no_device_codePKciS0_iS0_@rel32@lo+4
	s_addc_u32 s7, s7, _ZL14no_device_codePKciS0_iS0_@rel32@hi+12
	v_mov_b32_e32 v0, 0x124
	v_mov_b32_e32 v1, s4
	;; [unrolled: 1-line block ×3, first 2 shown]
	s_mov_b32 s32, 0
	s_swappc_b64 s[30:31], s[6:7]
	.section	.rodata,"a",@progbits
	.p2align	6, 0x0
	.amdhsa_kernel _ZL9mul_mat_fIfLi64ELi3ELi4ELb1EEvPKT_PKfPKiPfiiiiiiiiiiiiiiii
		.amdhsa_group_segment_fixed_size 0
		.amdhsa_private_segment_fixed_size 16
		.amdhsa_kernarg_size 352
		.amdhsa_user_sgpr_count 6
		.amdhsa_user_sgpr_private_segment_buffer 1
		.amdhsa_user_sgpr_dispatch_ptr 0
		.amdhsa_user_sgpr_queue_ptr 0
		.amdhsa_user_sgpr_kernarg_segment_ptr 1
		.amdhsa_user_sgpr_dispatch_id 0
		.amdhsa_user_sgpr_flat_scratch_init 0
		.amdhsa_user_sgpr_private_segment_size 0
		.amdhsa_uses_dynamic_stack 0
		.amdhsa_system_sgpr_private_segment_wavefront_offset 1
		.amdhsa_system_sgpr_workgroup_id_x 1
		.amdhsa_system_sgpr_workgroup_id_y 0
		.amdhsa_system_sgpr_workgroup_id_z 0
		.amdhsa_system_sgpr_workgroup_info 0
		.amdhsa_system_vgpr_workitem_id 0
		.amdhsa_next_free_vgpr 38
		.amdhsa_next_free_sgpr 34
		.amdhsa_reserve_vcc 1
		.amdhsa_reserve_flat_scratch 0
		.amdhsa_float_round_mode_32 0
		.amdhsa_float_round_mode_16_64 0
		.amdhsa_float_denorm_mode_32 3
		.amdhsa_float_denorm_mode_16_64 3
		.amdhsa_dx10_clamp 1
		.amdhsa_ieee_mode 1
		.amdhsa_fp16_overflow 0
		.amdhsa_exception_fp_ieee_invalid_op 0
		.amdhsa_exception_fp_denorm_src 0
		.amdhsa_exception_fp_ieee_div_zero 0
		.amdhsa_exception_fp_ieee_overflow 0
		.amdhsa_exception_fp_ieee_underflow 0
		.amdhsa_exception_fp_ieee_inexact 0
		.amdhsa_exception_int_div_zero 0
	.end_amdhsa_kernel
	.section	.text._ZL9mul_mat_fIfLi64ELi3ELi4ELb1EEvPKT_PKfPKiPfiiiiiiiiiiiiiiii,"axG",@progbits,_ZL9mul_mat_fIfLi64ELi3ELi4ELb1EEvPKT_PKfPKiPfiiiiiiiiiiiiiiii,comdat
.Lfunc_end85:
	.size	_ZL9mul_mat_fIfLi64ELi3ELi4ELb1EEvPKT_PKfPKiPfiiiiiiiiiiiiiiii, .Lfunc_end85-_ZL9mul_mat_fIfLi64ELi3ELi4ELb1EEvPKT_PKfPKiPfiiiiiiiiiiiiiiii
                                        ; -- End function
	.set _ZL9mul_mat_fIfLi64ELi3ELi4ELb1EEvPKT_PKfPKiPfiiiiiiiiiiiiiiii.num_vgpr, max(3, .L_ZL14no_device_codePKciS0_iS0_.num_vgpr)
	.set _ZL9mul_mat_fIfLi64ELi3ELi4ELb1EEvPKT_PKfPKiPfiiiiiiiiiiiiiiii.num_agpr, max(0, .L_ZL14no_device_codePKciS0_iS0_.num_agpr)
	.set _ZL9mul_mat_fIfLi64ELi3ELi4ELb1EEvPKT_PKfPKiPfiiiiiiiiiiiiiiii.numbered_sgpr, max(33, .L_ZL14no_device_codePKciS0_iS0_.numbered_sgpr)
	.set _ZL9mul_mat_fIfLi64ELi3ELi4ELb1EEvPKT_PKfPKiPfiiiiiiiiiiiiiiii.num_named_barrier, max(0, .L_ZL14no_device_codePKciS0_iS0_.num_named_barrier)
	.set _ZL9mul_mat_fIfLi64ELi3ELi4ELb1EEvPKT_PKfPKiPfiiiiiiiiiiiiiiii.private_seg_size, 0+max(.L_ZL14no_device_codePKciS0_iS0_.private_seg_size)
	.set _ZL9mul_mat_fIfLi64ELi3ELi4ELb1EEvPKT_PKfPKiPfiiiiiiiiiiiiiiii.uses_vcc, or(1, .L_ZL14no_device_codePKciS0_iS0_.uses_vcc)
	.set _ZL9mul_mat_fIfLi64ELi3ELi4ELb1EEvPKT_PKfPKiPfiiiiiiiiiiiiiiii.uses_flat_scratch, or(0, .L_ZL14no_device_codePKciS0_iS0_.uses_flat_scratch)
	.set _ZL9mul_mat_fIfLi64ELi3ELi4ELb1EEvPKT_PKfPKiPfiiiiiiiiiiiiiiii.has_dyn_sized_stack, or(0, .L_ZL14no_device_codePKciS0_iS0_.has_dyn_sized_stack)
	.set _ZL9mul_mat_fIfLi64ELi3ELi4ELb1EEvPKT_PKfPKiPfiiiiiiiiiiiiiiii.has_recursion, or(0, .L_ZL14no_device_codePKciS0_iS0_.has_recursion)
	.set _ZL9mul_mat_fIfLi64ELi3ELi4ELb1EEvPKT_PKfPKiPfiiiiiiiiiiiiiiii.has_indirect_call, or(0, .L_ZL14no_device_codePKciS0_iS0_.has_indirect_call)
	.section	.AMDGPU.csdata,"",@progbits
; Kernel info:
; codeLenInByte = 84
; TotalNumSgprs: 38
; NumVgprs: 38
; ScratchSize: 16
; MemoryBound: 0
; FloatMode: 240
; IeeeMode: 1
; LDSByteSize: 0 bytes/workgroup (compile time only)
; SGPRBlocks: 4
; VGPRBlocks: 9
; NumSGPRsForWavesPerEU: 38
; NumVGPRsForWavesPerEU: 38
; Occupancy: 6
; WaveLimiterHint : 1
; COMPUTE_PGM_RSRC2:SCRATCH_EN: 1
; COMPUTE_PGM_RSRC2:USER_SGPR: 6
; COMPUTE_PGM_RSRC2:TRAP_HANDLER: 0
; COMPUTE_PGM_RSRC2:TGID_X_EN: 1
; COMPUTE_PGM_RSRC2:TGID_Y_EN: 0
; COMPUTE_PGM_RSRC2:TGID_Z_EN: 0
; COMPUTE_PGM_RSRC2:TIDIG_COMP_CNT: 0
	.section	.text._ZL9mul_mat_fIfLi64ELi3ELi4ELb0EEvPKT_PKfPKiPfiiiiiiiiiiiiiiii,"axG",@progbits,_ZL9mul_mat_fIfLi64ELi3ELi4ELb0EEvPKT_PKfPKiPfiiiiiiiiiiiiiiii,comdat
	.globl	_ZL9mul_mat_fIfLi64ELi3ELi4ELb0EEvPKT_PKfPKiPfiiiiiiiiiiiiiiii ; -- Begin function _ZL9mul_mat_fIfLi64ELi3ELi4ELb0EEvPKT_PKfPKiPfiiiiiiiiiiiiiiii
	.p2align	8
	.type	_ZL9mul_mat_fIfLi64ELi3ELi4ELb0EEvPKT_PKfPKiPfiiiiiiiiiiiiiiii,@function
_ZL9mul_mat_fIfLi64ELi3ELi4ELb0EEvPKT_PKfPKiPfiiiiiiiiiiiiiiii: ; @_ZL9mul_mat_fIfLi64ELi3ELi4ELb0EEvPKT_PKfPKiPfiiiiiiiiiiiiiiii
; %bb.0:
	s_add_u32 s0, s0, s7
	s_addc_u32 s1, s1, 0
	s_add_u32 s8, s4, 0x60
	s_addc_u32 s9, s5, 0
	s_getpc_b64 s[4:5]
	s_add_u32 s4, s4, __FUNCTION__._ZL9mul_mat_fIfLi32ELi3ELi1ELb1EEvPKT_PKfPKiPfiiiiiiiiiiiiiiii@rel32@lo+4
	s_addc_u32 s5, s5, __FUNCTION__._ZL9mul_mat_fIfLi32ELi3ELi1ELb1EEvPKT_PKfPKiPfiiiiiiiiiiiiiiii@rel32@hi+12
	s_getpc_b64 s[6:7]
	s_add_u32 s6, s6, _ZL14no_device_codePKciS0_iS0_@rel32@lo+4
	s_addc_u32 s7, s7, _ZL14no_device_codePKciS0_iS0_@rel32@hi+12
	v_mov_b32_e32 v0, 0x124
	v_mov_b32_e32 v1, s4
	;; [unrolled: 1-line block ×3, first 2 shown]
	s_mov_b32 s32, 0
	s_swappc_b64 s[30:31], s[6:7]
	.section	.rodata,"a",@progbits
	.p2align	6, 0x0
	.amdhsa_kernel _ZL9mul_mat_fIfLi64ELi3ELi4ELb0EEvPKT_PKfPKiPfiiiiiiiiiiiiiiii
		.amdhsa_group_segment_fixed_size 0
		.amdhsa_private_segment_fixed_size 16
		.amdhsa_kernarg_size 352
		.amdhsa_user_sgpr_count 6
		.amdhsa_user_sgpr_private_segment_buffer 1
		.amdhsa_user_sgpr_dispatch_ptr 0
		.amdhsa_user_sgpr_queue_ptr 0
		.amdhsa_user_sgpr_kernarg_segment_ptr 1
		.amdhsa_user_sgpr_dispatch_id 0
		.amdhsa_user_sgpr_flat_scratch_init 0
		.amdhsa_user_sgpr_private_segment_size 0
		.amdhsa_uses_dynamic_stack 0
		.amdhsa_system_sgpr_private_segment_wavefront_offset 1
		.amdhsa_system_sgpr_workgroup_id_x 1
		.amdhsa_system_sgpr_workgroup_id_y 0
		.amdhsa_system_sgpr_workgroup_id_z 0
		.amdhsa_system_sgpr_workgroup_info 0
		.amdhsa_system_vgpr_workitem_id 0
		.amdhsa_next_free_vgpr 38
		.amdhsa_next_free_sgpr 34
		.amdhsa_reserve_vcc 1
		.amdhsa_reserve_flat_scratch 0
		.amdhsa_float_round_mode_32 0
		.amdhsa_float_round_mode_16_64 0
		.amdhsa_float_denorm_mode_32 3
		.amdhsa_float_denorm_mode_16_64 3
		.amdhsa_dx10_clamp 1
		.amdhsa_ieee_mode 1
		.amdhsa_fp16_overflow 0
		.amdhsa_exception_fp_ieee_invalid_op 0
		.amdhsa_exception_fp_denorm_src 0
		.amdhsa_exception_fp_ieee_div_zero 0
		.amdhsa_exception_fp_ieee_overflow 0
		.amdhsa_exception_fp_ieee_underflow 0
		.amdhsa_exception_fp_ieee_inexact 0
		.amdhsa_exception_int_div_zero 0
	.end_amdhsa_kernel
	.section	.text._ZL9mul_mat_fIfLi64ELi3ELi4ELb0EEvPKT_PKfPKiPfiiiiiiiiiiiiiiii,"axG",@progbits,_ZL9mul_mat_fIfLi64ELi3ELi4ELb0EEvPKT_PKfPKiPfiiiiiiiiiiiiiiii,comdat
.Lfunc_end86:
	.size	_ZL9mul_mat_fIfLi64ELi3ELi4ELb0EEvPKT_PKfPKiPfiiiiiiiiiiiiiiii, .Lfunc_end86-_ZL9mul_mat_fIfLi64ELi3ELi4ELb0EEvPKT_PKfPKiPfiiiiiiiiiiiiiiii
                                        ; -- End function
	.set _ZL9mul_mat_fIfLi64ELi3ELi4ELb0EEvPKT_PKfPKiPfiiiiiiiiiiiiiiii.num_vgpr, max(3, .L_ZL14no_device_codePKciS0_iS0_.num_vgpr)
	.set _ZL9mul_mat_fIfLi64ELi3ELi4ELb0EEvPKT_PKfPKiPfiiiiiiiiiiiiiiii.num_agpr, max(0, .L_ZL14no_device_codePKciS0_iS0_.num_agpr)
	.set _ZL9mul_mat_fIfLi64ELi3ELi4ELb0EEvPKT_PKfPKiPfiiiiiiiiiiiiiiii.numbered_sgpr, max(33, .L_ZL14no_device_codePKciS0_iS0_.numbered_sgpr)
	.set _ZL9mul_mat_fIfLi64ELi3ELi4ELb0EEvPKT_PKfPKiPfiiiiiiiiiiiiiiii.num_named_barrier, max(0, .L_ZL14no_device_codePKciS0_iS0_.num_named_barrier)
	.set _ZL9mul_mat_fIfLi64ELi3ELi4ELb0EEvPKT_PKfPKiPfiiiiiiiiiiiiiiii.private_seg_size, 0+max(.L_ZL14no_device_codePKciS0_iS0_.private_seg_size)
	.set _ZL9mul_mat_fIfLi64ELi3ELi4ELb0EEvPKT_PKfPKiPfiiiiiiiiiiiiiiii.uses_vcc, or(1, .L_ZL14no_device_codePKciS0_iS0_.uses_vcc)
	.set _ZL9mul_mat_fIfLi64ELi3ELi4ELb0EEvPKT_PKfPKiPfiiiiiiiiiiiiiiii.uses_flat_scratch, or(0, .L_ZL14no_device_codePKciS0_iS0_.uses_flat_scratch)
	.set _ZL9mul_mat_fIfLi64ELi3ELi4ELb0EEvPKT_PKfPKiPfiiiiiiiiiiiiiiii.has_dyn_sized_stack, or(0, .L_ZL14no_device_codePKciS0_iS0_.has_dyn_sized_stack)
	.set _ZL9mul_mat_fIfLi64ELi3ELi4ELb0EEvPKT_PKfPKiPfiiiiiiiiiiiiiiii.has_recursion, or(0, .L_ZL14no_device_codePKciS0_iS0_.has_recursion)
	.set _ZL9mul_mat_fIfLi64ELi3ELi4ELb0EEvPKT_PKfPKiPfiiiiiiiiiiiiiiii.has_indirect_call, or(0, .L_ZL14no_device_codePKciS0_iS0_.has_indirect_call)
	.section	.AMDGPU.csdata,"",@progbits
; Kernel info:
; codeLenInByte = 84
; TotalNumSgprs: 38
; NumVgprs: 38
; ScratchSize: 16
; MemoryBound: 0
; FloatMode: 240
; IeeeMode: 1
; LDSByteSize: 0 bytes/workgroup (compile time only)
; SGPRBlocks: 4
; VGPRBlocks: 9
; NumSGPRsForWavesPerEU: 38
; NumVGPRsForWavesPerEU: 38
; Occupancy: 6
; WaveLimiterHint : 1
; COMPUTE_PGM_RSRC2:SCRATCH_EN: 1
; COMPUTE_PGM_RSRC2:USER_SGPR: 6
; COMPUTE_PGM_RSRC2:TRAP_HANDLER: 0
; COMPUTE_PGM_RSRC2:TGID_X_EN: 1
; COMPUTE_PGM_RSRC2:TGID_Y_EN: 0
; COMPUTE_PGM_RSRC2:TGID_Z_EN: 0
; COMPUTE_PGM_RSRC2:TIDIG_COMP_CNT: 0
	.section	.text._ZL13mul_mat_f_idsIfLi64ELi3ELi5EEvPKT_PKfPKiS6_S6_Pfiiiiiiiiiiiiii15HIP_vector_typeIjLj3EES9_,"axG",@progbits,_ZL13mul_mat_f_idsIfLi64ELi3ELi5EEvPKT_PKfPKiS6_S6_Pfiiiiiiiiiiiiii15HIP_vector_typeIjLj3EES9_,comdat
	.globl	_ZL13mul_mat_f_idsIfLi64ELi3ELi5EEvPKT_PKfPKiS6_S6_Pfiiiiiiiiiiiiii15HIP_vector_typeIjLj3EES9_ ; -- Begin function _ZL13mul_mat_f_idsIfLi64ELi3ELi5EEvPKT_PKfPKiS6_S6_Pfiiiiiiiiiiiiii15HIP_vector_typeIjLj3EES9_
	.p2align	8
	.type	_ZL13mul_mat_f_idsIfLi64ELi3ELi5EEvPKT_PKfPKiS6_S6_Pfiiiiiiiiiiiiii15HIP_vector_typeIjLj3EES9_,@function
_ZL13mul_mat_f_idsIfLi64ELi3ELi5EEvPKT_PKfPKiS6_S6_Pfiiiiiiiiiiiiii15HIP_vector_typeIjLj3EES9_: ; @_ZL13mul_mat_f_idsIfLi64ELi3ELi5EEvPKT_PKfPKiS6_S6_Pfiiiiiiiiiiiiii15HIP_vector_typeIjLj3EES9_
; %bb.0:
	s_add_u32 s0, s0, s7
	s_addc_u32 s1, s1, 0
	s_add_u32 s8, s4, 0x80
	s_addc_u32 s9, s5, 0
	s_getpc_b64 s[4:5]
	s_add_u32 s4, s4, __FUNCTION__._ZL13mul_mat_f_idsIfLi32ELi3ELi1EEvPKT_PKfPKiS6_S6_Pfiiiiiiiiiiiiii15HIP_vector_typeIjLj3EES9_@rel32@lo+4
	s_addc_u32 s5, s5, __FUNCTION__._ZL13mul_mat_f_idsIfLi32ELi3ELi1EEvPKT_PKfPKiS6_S6_Pfiiiiiiiiiiiiii15HIP_vector_typeIjLj3EES9_@rel32@hi+12
	s_getpc_b64 s[6:7]
	s_add_u32 s6, s6, _ZL14no_device_codePKciS0_iS0_@rel32@lo+4
	s_addc_u32 s7, s7, _ZL14no_device_codePKciS0_iS0_@rel32@hi+12
	v_mov_b32_e32 v0, 0x238
	v_mov_b32_e32 v1, s4
	;; [unrolled: 1-line block ×3, first 2 shown]
	s_mov_b32 s32, 0
	s_swappc_b64 s[30:31], s[6:7]
	.section	.rodata,"a",@progbits
	.p2align	6, 0x0
	.amdhsa_kernel _ZL13mul_mat_f_idsIfLi64ELi3ELi5EEvPKT_PKfPKiS6_S6_Pfiiiiiiiiiiiiii15HIP_vector_typeIjLj3EES9_
		.amdhsa_group_segment_fixed_size 0
		.amdhsa_private_segment_fixed_size 16
		.amdhsa_kernarg_size 384
		.amdhsa_user_sgpr_count 6
		.amdhsa_user_sgpr_private_segment_buffer 1
		.amdhsa_user_sgpr_dispatch_ptr 0
		.amdhsa_user_sgpr_queue_ptr 0
		.amdhsa_user_sgpr_kernarg_segment_ptr 1
		.amdhsa_user_sgpr_dispatch_id 0
		.amdhsa_user_sgpr_flat_scratch_init 0
		.amdhsa_user_sgpr_private_segment_size 0
		.amdhsa_uses_dynamic_stack 0
		.amdhsa_system_sgpr_private_segment_wavefront_offset 1
		.amdhsa_system_sgpr_workgroup_id_x 1
		.amdhsa_system_sgpr_workgroup_id_y 0
		.amdhsa_system_sgpr_workgroup_id_z 0
		.amdhsa_system_sgpr_workgroup_info 0
		.amdhsa_system_vgpr_workitem_id 0
		.amdhsa_next_free_vgpr 38
		.amdhsa_next_free_sgpr 34
		.amdhsa_reserve_vcc 1
		.amdhsa_reserve_flat_scratch 0
		.amdhsa_float_round_mode_32 0
		.amdhsa_float_round_mode_16_64 0
		.amdhsa_float_denorm_mode_32 3
		.amdhsa_float_denorm_mode_16_64 3
		.amdhsa_dx10_clamp 1
		.amdhsa_ieee_mode 1
		.amdhsa_fp16_overflow 0
		.amdhsa_exception_fp_ieee_invalid_op 0
		.amdhsa_exception_fp_denorm_src 0
		.amdhsa_exception_fp_ieee_div_zero 0
		.amdhsa_exception_fp_ieee_overflow 0
		.amdhsa_exception_fp_ieee_underflow 0
		.amdhsa_exception_fp_ieee_inexact 0
		.amdhsa_exception_int_div_zero 0
	.end_amdhsa_kernel
	.section	.text._ZL13mul_mat_f_idsIfLi64ELi3ELi5EEvPKT_PKfPKiS6_S6_Pfiiiiiiiiiiiiii15HIP_vector_typeIjLj3EES9_,"axG",@progbits,_ZL13mul_mat_f_idsIfLi64ELi3ELi5EEvPKT_PKfPKiS6_S6_Pfiiiiiiiiiiiiii15HIP_vector_typeIjLj3EES9_,comdat
.Lfunc_end87:
	.size	_ZL13mul_mat_f_idsIfLi64ELi3ELi5EEvPKT_PKfPKiS6_S6_Pfiiiiiiiiiiiiii15HIP_vector_typeIjLj3EES9_, .Lfunc_end87-_ZL13mul_mat_f_idsIfLi64ELi3ELi5EEvPKT_PKfPKiS6_S6_Pfiiiiiiiiiiiiii15HIP_vector_typeIjLj3EES9_
                                        ; -- End function
	.set _ZL13mul_mat_f_idsIfLi64ELi3ELi5EEvPKT_PKfPKiS6_S6_Pfiiiiiiiiiiiiii15HIP_vector_typeIjLj3EES9_.num_vgpr, max(3, .L_ZL14no_device_codePKciS0_iS0_.num_vgpr)
	.set _ZL13mul_mat_f_idsIfLi64ELi3ELi5EEvPKT_PKfPKiS6_S6_Pfiiiiiiiiiiiiii15HIP_vector_typeIjLj3EES9_.num_agpr, max(0, .L_ZL14no_device_codePKciS0_iS0_.num_agpr)
	.set _ZL13mul_mat_f_idsIfLi64ELi3ELi5EEvPKT_PKfPKiS6_S6_Pfiiiiiiiiiiiiii15HIP_vector_typeIjLj3EES9_.numbered_sgpr, max(33, .L_ZL14no_device_codePKciS0_iS0_.numbered_sgpr)
	.set _ZL13mul_mat_f_idsIfLi64ELi3ELi5EEvPKT_PKfPKiS6_S6_Pfiiiiiiiiiiiiii15HIP_vector_typeIjLj3EES9_.num_named_barrier, max(0, .L_ZL14no_device_codePKciS0_iS0_.num_named_barrier)
	.set _ZL13mul_mat_f_idsIfLi64ELi3ELi5EEvPKT_PKfPKiS6_S6_Pfiiiiiiiiiiiiii15HIP_vector_typeIjLj3EES9_.private_seg_size, 0+max(.L_ZL14no_device_codePKciS0_iS0_.private_seg_size)
	.set _ZL13mul_mat_f_idsIfLi64ELi3ELi5EEvPKT_PKfPKiS6_S6_Pfiiiiiiiiiiiiii15HIP_vector_typeIjLj3EES9_.uses_vcc, or(1, .L_ZL14no_device_codePKciS0_iS0_.uses_vcc)
	.set _ZL13mul_mat_f_idsIfLi64ELi3ELi5EEvPKT_PKfPKiS6_S6_Pfiiiiiiiiiiiiii15HIP_vector_typeIjLj3EES9_.uses_flat_scratch, or(0, .L_ZL14no_device_codePKciS0_iS0_.uses_flat_scratch)
	.set _ZL13mul_mat_f_idsIfLi64ELi3ELi5EEvPKT_PKfPKiS6_S6_Pfiiiiiiiiiiiiii15HIP_vector_typeIjLj3EES9_.has_dyn_sized_stack, or(0, .L_ZL14no_device_codePKciS0_iS0_.has_dyn_sized_stack)
	.set _ZL13mul_mat_f_idsIfLi64ELi3ELi5EEvPKT_PKfPKiS6_S6_Pfiiiiiiiiiiiiii15HIP_vector_typeIjLj3EES9_.has_recursion, or(0, .L_ZL14no_device_codePKciS0_iS0_.has_recursion)
	.set _ZL13mul_mat_f_idsIfLi64ELi3ELi5EEvPKT_PKfPKiS6_S6_Pfiiiiiiiiiiiiii15HIP_vector_typeIjLj3EES9_.has_indirect_call, or(0, .L_ZL14no_device_codePKciS0_iS0_.has_indirect_call)
	.section	.AMDGPU.csdata,"",@progbits
; Kernel info:
; codeLenInByte = 84
; TotalNumSgprs: 38
; NumVgprs: 38
; ScratchSize: 16
; MemoryBound: 0
; FloatMode: 240
; IeeeMode: 1
; LDSByteSize: 0 bytes/workgroup (compile time only)
; SGPRBlocks: 4
; VGPRBlocks: 9
; NumSGPRsForWavesPerEU: 38
; NumVGPRsForWavesPerEU: 38
; Occupancy: 6
; WaveLimiterHint : 1
; COMPUTE_PGM_RSRC2:SCRATCH_EN: 1
; COMPUTE_PGM_RSRC2:USER_SGPR: 6
; COMPUTE_PGM_RSRC2:TRAP_HANDLER: 0
; COMPUTE_PGM_RSRC2:TGID_X_EN: 1
; COMPUTE_PGM_RSRC2:TGID_Y_EN: 0
; COMPUTE_PGM_RSRC2:TGID_Z_EN: 0
; COMPUTE_PGM_RSRC2:TIDIG_COMP_CNT: 0
	.section	.text._ZL9mul_mat_fIfLi64ELi3ELi5ELb1EEvPKT_PKfPKiPfiiiiiiiiiiiiiiii,"axG",@progbits,_ZL9mul_mat_fIfLi64ELi3ELi5ELb1EEvPKT_PKfPKiPfiiiiiiiiiiiiiiii,comdat
	.globl	_ZL9mul_mat_fIfLi64ELi3ELi5ELb1EEvPKT_PKfPKiPfiiiiiiiiiiiiiiii ; -- Begin function _ZL9mul_mat_fIfLi64ELi3ELi5ELb1EEvPKT_PKfPKiPfiiiiiiiiiiiiiiii
	.p2align	8
	.type	_ZL9mul_mat_fIfLi64ELi3ELi5ELb1EEvPKT_PKfPKiPfiiiiiiiiiiiiiiii,@function
_ZL9mul_mat_fIfLi64ELi3ELi5ELb1EEvPKT_PKfPKiPfiiiiiiiiiiiiiiii: ; @_ZL9mul_mat_fIfLi64ELi3ELi5ELb1EEvPKT_PKfPKiPfiiiiiiiiiiiiiiii
; %bb.0:
	s_add_u32 s0, s0, s7
	s_addc_u32 s1, s1, 0
	s_add_u32 s8, s4, 0x60
	s_addc_u32 s9, s5, 0
	s_getpc_b64 s[4:5]
	s_add_u32 s4, s4, __FUNCTION__._ZL9mul_mat_fIfLi32ELi3ELi1ELb1EEvPKT_PKfPKiPfiiiiiiiiiiiiiiii@rel32@lo+4
	s_addc_u32 s5, s5, __FUNCTION__._ZL9mul_mat_fIfLi32ELi3ELi1ELb1EEvPKT_PKfPKiPfiiiiiiiiiiiiiiii@rel32@hi+12
	s_getpc_b64 s[6:7]
	s_add_u32 s6, s6, _ZL14no_device_codePKciS0_iS0_@rel32@lo+4
	s_addc_u32 s7, s7, _ZL14no_device_codePKciS0_iS0_@rel32@hi+12
	v_mov_b32_e32 v0, 0x124
	v_mov_b32_e32 v1, s4
	;; [unrolled: 1-line block ×3, first 2 shown]
	s_mov_b32 s32, 0
	s_swappc_b64 s[30:31], s[6:7]
	.section	.rodata,"a",@progbits
	.p2align	6, 0x0
	.amdhsa_kernel _ZL9mul_mat_fIfLi64ELi3ELi5ELb1EEvPKT_PKfPKiPfiiiiiiiiiiiiiiii
		.amdhsa_group_segment_fixed_size 0
		.amdhsa_private_segment_fixed_size 16
		.amdhsa_kernarg_size 352
		.amdhsa_user_sgpr_count 6
		.amdhsa_user_sgpr_private_segment_buffer 1
		.amdhsa_user_sgpr_dispatch_ptr 0
		.amdhsa_user_sgpr_queue_ptr 0
		.amdhsa_user_sgpr_kernarg_segment_ptr 1
		.amdhsa_user_sgpr_dispatch_id 0
		.amdhsa_user_sgpr_flat_scratch_init 0
		.amdhsa_user_sgpr_private_segment_size 0
		.amdhsa_uses_dynamic_stack 0
		.amdhsa_system_sgpr_private_segment_wavefront_offset 1
		.amdhsa_system_sgpr_workgroup_id_x 1
		.amdhsa_system_sgpr_workgroup_id_y 0
		.amdhsa_system_sgpr_workgroup_id_z 0
		.amdhsa_system_sgpr_workgroup_info 0
		.amdhsa_system_vgpr_workitem_id 0
		.amdhsa_next_free_vgpr 38
		.amdhsa_next_free_sgpr 34
		.amdhsa_reserve_vcc 1
		.amdhsa_reserve_flat_scratch 0
		.amdhsa_float_round_mode_32 0
		.amdhsa_float_round_mode_16_64 0
		.amdhsa_float_denorm_mode_32 3
		.amdhsa_float_denorm_mode_16_64 3
		.amdhsa_dx10_clamp 1
		.amdhsa_ieee_mode 1
		.amdhsa_fp16_overflow 0
		.amdhsa_exception_fp_ieee_invalid_op 0
		.amdhsa_exception_fp_denorm_src 0
		.amdhsa_exception_fp_ieee_div_zero 0
		.amdhsa_exception_fp_ieee_overflow 0
		.amdhsa_exception_fp_ieee_underflow 0
		.amdhsa_exception_fp_ieee_inexact 0
		.amdhsa_exception_int_div_zero 0
	.end_amdhsa_kernel
	.section	.text._ZL9mul_mat_fIfLi64ELi3ELi5ELb1EEvPKT_PKfPKiPfiiiiiiiiiiiiiiii,"axG",@progbits,_ZL9mul_mat_fIfLi64ELi3ELi5ELb1EEvPKT_PKfPKiPfiiiiiiiiiiiiiiii,comdat
.Lfunc_end88:
	.size	_ZL9mul_mat_fIfLi64ELi3ELi5ELb1EEvPKT_PKfPKiPfiiiiiiiiiiiiiiii, .Lfunc_end88-_ZL9mul_mat_fIfLi64ELi3ELi5ELb1EEvPKT_PKfPKiPfiiiiiiiiiiiiiiii
                                        ; -- End function
	.set _ZL9mul_mat_fIfLi64ELi3ELi5ELb1EEvPKT_PKfPKiPfiiiiiiiiiiiiiiii.num_vgpr, max(3, .L_ZL14no_device_codePKciS0_iS0_.num_vgpr)
	.set _ZL9mul_mat_fIfLi64ELi3ELi5ELb1EEvPKT_PKfPKiPfiiiiiiiiiiiiiiii.num_agpr, max(0, .L_ZL14no_device_codePKciS0_iS0_.num_agpr)
	.set _ZL9mul_mat_fIfLi64ELi3ELi5ELb1EEvPKT_PKfPKiPfiiiiiiiiiiiiiiii.numbered_sgpr, max(33, .L_ZL14no_device_codePKciS0_iS0_.numbered_sgpr)
	.set _ZL9mul_mat_fIfLi64ELi3ELi5ELb1EEvPKT_PKfPKiPfiiiiiiiiiiiiiiii.num_named_barrier, max(0, .L_ZL14no_device_codePKciS0_iS0_.num_named_barrier)
	.set _ZL9mul_mat_fIfLi64ELi3ELi5ELb1EEvPKT_PKfPKiPfiiiiiiiiiiiiiiii.private_seg_size, 0+max(.L_ZL14no_device_codePKciS0_iS0_.private_seg_size)
	.set _ZL9mul_mat_fIfLi64ELi3ELi5ELb1EEvPKT_PKfPKiPfiiiiiiiiiiiiiiii.uses_vcc, or(1, .L_ZL14no_device_codePKciS0_iS0_.uses_vcc)
	.set _ZL9mul_mat_fIfLi64ELi3ELi5ELb1EEvPKT_PKfPKiPfiiiiiiiiiiiiiiii.uses_flat_scratch, or(0, .L_ZL14no_device_codePKciS0_iS0_.uses_flat_scratch)
	.set _ZL9mul_mat_fIfLi64ELi3ELi5ELb1EEvPKT_PKfPKiPfiiiiiiiiiiiiiiii.has_dyn_sized_stack, or(0, .L_ZL14no_device_codePKciS0_iS0_.has_dyn_sized_stack)
	.set _ZL9mul_mat_fIfLi64ELi3ELi5ELb1EEvPKT_PKfPKiPfiiiiiiiiiiiiiiii.has_recursion, or(0, .L_ZL14no_device_codePKciS0_iS0_.has_recursion)
	.set _ZL9mul_mat_fIfLi64ELi3ELi5ELb1EEvPKT_PKfPKiPfiiiiiiiiiiiiiiii.has_indirect_call, or(0, .L_ZL14no_device_codePKciS0_iS0_.has_indirect_call)
	.section	.AMDGPU.csdata,"",@progbits
; Kernel info:
; codeLenInByte = 84
; TotalNumSgprs: 38
; NumVgprs: 38
; ScratchSize: 16
; MemoryBound: 0
; FloatMode: 240
; IeeeMode: 1
; LDSByteSize: 0 bytes/workgroup (compile time only)
; SGPRBlocks: 4
; VGPRBlocks: 9
; NumSGPRsForWavesPerEU: 38
; NumVGPRsForWavesPerEU: 38
; Occupancy: 6
; WaveLimiterHint : 1
; COMPUTE_PGM_RSRC2:SCRATCH_EN: 1
; COMPUTE_PGM_RSRC2:USER_SGPR: 6
; COMPUTE_PGM_RSRC2:TRAP_HANDLER: 0
; COMPUTE_PGM_RSRC2:TGID_X_EN: 1
; COMPUTE_PGM_RSRC2:TGID_Y_EN: 0
; COMPUTE_PGM_RSRC2:TGID_Z_EN: 0
; COMPUTE_PGM_RSRC2:TIDIG_COMP_CNT: 0
	.section	.text._ZL9mul_mat_fIfLi64ELi3ELi5ELb0EEvPKT_PKfPKiPfiiiiiiiiiiiiiiii,"axG",@progbits,_ZL9mul_mat_fIfLi64ELi3ELi5ELb0EEvPKT_PKfPKiPfiiiiiiiiiiiiiiii,comdat
	.globl	_ZL9mul_mat_fIfLi64ELi3ELi5ELb0EEvPKT_PKfPKiPfiiiiiiiiiiiiiiii ; -- Begin function _ZL9mul_mat_fIfLi64ELi3ELi5ELb0EEvPKT_PKfPKiPfiiiiiiiiiiiiiiii
	.p2align	8
	.type	_ZL9mul_mat_fIfLi64ELi3ELi5ELb0EEvPKT_PKfPKiPfiiiiiiiiiiiiiiii,@function
_ZL9mul_mat_fIfLi64ELi3ELi5ELb0EEvPKT_PKfPKiPfiiiiiiiiiiiiiiii: ; @_ZL9mul_mat_fIfLi64ELi3ELi5ELb0EEvPKT_PKfPKiPfiiiiiiiiiiiiiiii
; %bb.0:
	s_add_u32 s0, s0, s7
	s_addc_u32 s1, s1, 0
	s_add_u32 s8, s4, 0x60
	s_addc_u32 s9, s5, 0
	s_getpc_b64 s[4:5]
	s_add_u32 s4, s4, __FUNCTION__._ZL9mul_mat_fIfLi32ELi3ELi1ELb1EEvPKT_PKfPKiPfiiiiiiiiiiiiiiii@rel32@lo+4
	s_addc_u32 s5, s5, __FUNCTION__._ZL9mul_mat_fIfLi32ELi3ELi1ELb1EEvPKT_PKfPKiPfiiiiiiiiiiiiiiii@rel32@hi+12
	s_getpc_b64 s[6:7]
	s_add_u32 s6, s6, _ZL14no_device_codePKciS0_iS0_@rel32@lo+4
	s_addc_u32 s7, s7, _ZL14no_device_codePKciS0_iS0_@rel32@hi+12
	v_mov_b32_e32 v0, 0x124
	v_mov_b32_e32 v1, s4
	v_mov_b32_e32 v2, s5
	s_mov_b32 s32, 0
	s_swappc_b64 s[30:31], s[6:7]
	.section	.rodata,"a",@progbits
	.p2align	6, 0x0
	.amdhsa_kernel _ZL9mul_mat_fIfLi64ELi3ELi5ELb0EEvPKT_PKfPKiPfiiiiiiiiiiiiiiii
		.amdhsa_group_segment_fixed_size 0
		.amdhsa_private_segment_fixed_size 16
		.amdhsa_kernarg_size 352
		.amdhsa_user_sgpr_count 6
		.amdhsa_user_sgpr_private_segment_buffer 1
		.amdhsa_user_sgpr_dispatch_ptr 0
		.amdhsa_user_sgpr_queue_ptr 0
		.amdhsa_user_sgpr_kernarg_segment_ptr 1
		.amdhsa_user_sgpr_dispatch_id 0
		.amdhsa_user_sgpr_flat_scratch_init 0
		.amdhsa_user_sgpr_private_segment_size 0
		.amdhsa_uses_dynamic_stack 0
		.amdhsa_system_sgpr_private_segment_wavefront_offset 1
		.amdhsa_system_sgpr_workgroup_id_x 1
		.amdhsa_system_sgpr_workgroup_id_y 0
		.amdhsa_system_sgpr_workgroup_id_z 0
		.amdhsa_system_sgpr_workgroup_info 0
		.amdhsa_system_vgpr_workitem_id 0
		.amdhsa_next_free_vgpr 38
		.amdhsa_next_free_sgpr 34
		.amdhsa_reserve_vcc 1
		.amdhsa_reserve_flat_scratch 0
		.amdhsa_float_round_mode_32 0
		.amdhsa_float_round_mode_16_64 0
		.amdhsa_float_denorm_mode_32 3
		.amdhsa_float_denorm_mode_16_64 3
		.amdhsa_dx10_clamp 1
		.amdhsa_ieee_mode 1
		.amdhsa_fp16_overflow 0
		.amdhsa_exception_fp_ieee_invalid_op 0
		.amdhsa_exception_fp_denorm_src 0
		.amdhsa_exception_fp_ieee_div_zero 0
		.amdhsa_exception_fp_ieee_overflow 0
		.amdhsa_exception_fp_ieee_underflow 0
		.amdhsa_exception_fp_ieee_inexact 0
		.amdhsa_exception_int_div_zero 0
	.end_amdhsa_kernel
	.section	.text._ZL9mul_mat_fIfLi64ELi3ELi5ELb0EEvPKT_PKfPKiPfiiiiiiiiiiiiiiii,"axG",@progbits,_ZL9mul_mat_fIfLi64ELi3ELi5ELb0EEvPKT_PKfPKiPfiiiiiiiiiiiiiiii,comdat
.Lfunc_end89:
	.size	_ZL9mul_mat_fIfLi64ELi3ELi5ELb0EEvPKT_PKfPKiPfiiiiiiiiiiiiiiii, .Lfunc_end89-_ZL9mul_mat_fIfLi64ELi3ELi5ELb0EEvPKT_PKfPKiPfiiiiiiiiiiiiiiii
                                        ; -- End function
	.set _ZL9mul_mat_fIfLi64ELi3ELi5ELb0EEvPKT_PKfPKiPfiiiiiiiiiiiiiiii.num_vgpr, max(3, .L_ZL14no_device_codePKciS0_iS0_.num_vgpr)
	.set _ZL9mul_mat_fIfLi64ELi3ELi5ELb0EEvPKT_PKfPKiPfiiiiiiiiiiiiiiii.num_agpr, max(0, .L_ZL14no_device_codePKciS0_iS0_.num_agpr)
	.set _ZL9mul_mat_fIfLi64ELi3ELi5ELb0EEvPKT_PKfPKiPfiiiiiiiiiiiiiiii.numbered_sgpr, max(33, .L_ZL14no_device_codePKciS0_iS0_.numbered_sgpr)
	.set _ZL9mul_mat_fIfLi64ELi3ELi5ELb0EEvPKT_PKfPKiPfiiiiiiiiiiiiiiii.num_named_barrier, max(0, .L_ZL14no_device_codePKciS0_iS0_.num_named_barrier)
	.set _ZL9mul_mat_fIfLi64ELi3ELi5ELb0EEvPKT_PKfPKiPfiiiiiiiiiiiiiiii.private_seg_size, 0+max(.L_ZL14no_device_codePKciS0_iS0_.private_seg_size)
	.set _ZL9mul_mat_fIfLi64ELi3ELi5ELb0EEvPKT_PKfPKiPfiiiiiiiiiiiiiiii.uses_vcc, or(1, .L_ZL14no_device_codePKciS0_iS0_.uses_vcc)
	.set _ZL9mul_mat_fIfLi64ELi3ELi5ELb0EEvPKT_PKfPKiPfiiiiiiiiiiiiiiii.uses_flat_scratch, or(0, .L_ZL14no_device_codePKciS0_iS0_.uses_flat_scratch)
	.set _ZL9mul_mat_fIfLi64ELi3ELi5ELb0EEvPKT_PKfPKiPfiiiiiiiiiiiiiiii.has_dyn_sized_stack, or(0, .L_ZL14no_device_codePKciS0_iS0_.has_dyn_sized_stack)
	.set _ZL9mul_mat_fIfLi64ELi3ELi5ELb0EEvPKT_PKfPKiPfiiiiiiiiiiiiiiii.has_recursion, or(0, .L_ZL14no_device_codePKciS0_iS0_.has_recursion)
	.set _ZL9mul_mat_fIfLi64ELi3ELi5ELb0EEvPKT_PKfPKiPfiiiiiiiiiiiiiiii.has_indirect_call, or(0, .L_ZL14no_device_codePKciS0_iS0_.has_indirect_call)
	.section	.AMDGPU.csdata,"",@progbits
; Kernel info:
; codeLenInByte = 84
; TotalNumSgprs: 38
; NumVgprs: 38
; ScratchSize: 16
; MemoryBound: 0
; FloatMode: 240
; IeeeMode: 1
; LDSByteSize: 0 bytes/workgroup (compile time only)
; SGPRBlocks: 4
; VGPRBlocks: 9
; NumSGPRsForWavesPerEU: 38
; NumVGPRsForWavesPerEU: 38
; Occupancy: 6
; WaveLimiterHint : 1
; COMPUTE_PGM_RSRC2:SCRATCH_EN: 1
; COMPUTE_PGM_RSRC2:USER_SGPR: 6
; COMPUTE_PGM_RSRC2:TRAP_HANDLER: 0
; COMPUTE_PGM_RSRC2:TGID_X_EN: 1
; COMPUTE_PGM_RSRC2:TGID_Y_EN: 0
; COMPUTE_PGM_RSRC2:TGID_Z_EN: 0
; COMPUTE_PGM_RSRC2:TIDIG_COMP_CNT: 0
	.section	.text._ZL13mul_mat_f_idsIfLi64ELi3ELi6EEvPKT_PKfPKiS6_S6_Pfiiiiiiiiiiiiii15HIP_vector_typeIjLj3EES9_,"axG",@progbits,_ZL13mul_mat_f_idsIfLi64ELi3ELi6EEvPKT_PKfPKiS6_S6_Pfiiiiiiiiiiiiii15HIP_vector_typeIjLj3EES9_,comdat
	.globl	_ZL13mul_mat_f_idsIfLi64ELi3ELi6EEvPKT_PKfPKiS6_S6_Pfiiiiiiiiiiiiii15HIP_vector_typeIjLj3EES9_ ; -- Begin function _ZL13mul_mat_f_idsIfLi64ELi3ELi6EEvPKT_PKfPKiS6_S6_Pfiiiiiiiiiiiiii15HIP_vector_typeIjLj3EES9_
	.p2align	8
	.type	_ZL13mul_mat_f_idsIfLi64ELi3ELi6EEvPKT_PKfPKiS6_S6_Pfiiiiiiiiiiiiii15HIP_vector_typeIjLj3EES9_,@function
_ZL13mul_mat_f_idsIfLi64ELi3ELi6EEvPKT_PKfPKiS6_S6_Pfiiiiiiiiiiiiii15HIP_vector_typeIjLj3EES9_: ; @_ZL13mul_mat_f_idsIfLi64ELi3ELi6EEvPKT_PKfPKiS6_S6_Pfiiiiiiiiiiiiii15HIP_vector_typeIjLj3EES9_
; %bb.0:
	s_add_u32 s0, s0, s7
	s_addc_u32 s1, s1, 0
	s_add_u32 s8, s4, 0x80
	s_addc_u32 s9, s5, 0
	s_getpc_b64 s[4:5]
	s_add_u32 s4, s4, __FUNCTION__._ZL13mul_mat_f_idsIfLi32ELi3ELi1EEvPKT_PKfPKiS6_S6_Pfiiiiiiiiiiiiii15HIP_vector_typeIjLj3EES9_@rel32@lo+4
	s_addc_u32 s5, s5, __FUNCTION__._ZL13mul_mat_f_idsIfLi32ELi3ELi1EEvPKT_PKfPKiS6_S6_Pfiiiiiiiiiiiiii15HIP_vector_typeIjLj3EES9_@rel32@hi+12
	s_getpc_b64 s[6:7]
	s_add_u32 s6, s6, _ZL14no_device_codePKciS0_iS0_@rel32@lo+4
	s_addc_u32 s7, s7, _ZL14no_device_codePKciS0_iS0_@rel32@hi+12
	v_mov_b32_e32 v0, 0x238
	v_mov_b32_e32 v1, s4
	;; [unrolled: 1-line block ×3, first 2 shown]
	s_mov_b32 s32, 0
	s_swappc_b64 s[30:31], s[6:7]
	.section	.rodata,"a",@progbits
	.p2align	6, 0x0
	.amdhsa_kernel _ZL13mul_mat_f_idsIfLi64ELi3ELi6EEvPKT_PKfPKiS6_S6_Pfiiiiiiiiiiiiii15HIP_vector_typeIjLj3EES9_
		.amdhsa_group_segment_fixed_size 0
		.amdhsa_private_segment_fixed_size 16
		.amdhsa_kernarg_size 384
		.amdhsa_user_sgpr_count 6
		.amdhsa_user_sgpr_private_segment_buffer 1
		.amdhsa_user_sgpr_dispatch_ptr 0
		.amdhsa_user_sgpr_queue_ptr 0
		.amdhsa_user_sgpr_kernarg_segment_ptr 1
		.amdhsa_user_sgpr_dispatch_id 0
		.amdhsa_user_sgpr_flat_scratch_init 0
		.amdhsa_user_sgpr_private_segment_size 0
		.amdhsa_uses_dynamic_stack 0
		.amdhsa_system_sgpr_private_segment_wavefront_offset 1
		.amdhsa_system_sgpr_workgroup_id_x 1
		.amdhsa_system_sgpr_workgroup_id_y 0
		.amdhsa_system_sgpr_workgroup_id_z 0
		.amdhsa_system_sgpr_workgroup_info 0
		.amdhsa_system_vgpr_workitem_id 0
		.amdhsa_next_free_vgpr 38
		.amdhsa_next_free_sgpr 34
		.amdhsa_reserve_vcc 1
		.amdhsa_reserve_flat_scratch 0
		.amdhsa_float_round_mode_32 0
		.amdhsa_float_round_mode_16_64 0
		.amdhsa_float_denorm_mode_32 3
		.amdhsa_float_denorm_mode_16_64 3
		.amdhsa_dx10_clamp 1
		.amdhsa_ieee_mode 1
		.amdhsa_fp16_overflow 0
		.amdhsa_exception_fp_ieee_invalid_op 0
		.amdhsa_exception_fp_denorm_src 0
		.amdhsa_exception_fp_ieee_div_zero 0
		.amdhsa_exception_fp_ieee_overflow 0
		.amdhsa_exception_fp_ieee_underflow 0
		.amdhsa_exception_fp_ieee_inexact 0
		.amdhsa_exception_int_div_zero 0
	.end_amdhsa_kernel
	.section	.text._ZL13mul_mat_f_idsIfLi64ELi3ELi6EEvPKT_PKfPKiS6_S6_Pfiiiiiiiiiiiiii15HIP_vector_typeIjLj3EES9_,"axG",@progbits,_ZL13mul_mat_f_idsIfLi64ELi3ELi6EEvPKT_PKfPKiS6_S6_Pfiiiiiiiiiiiiii15HIP_vector_typeIjLj3EES9_,comdat
.Lfunc_end90:
	.size	_ZL13mul_mat_f_idsIfLi64ELi3ELi6EEvPKT_PKfPKiS6_S6_Pfiiiiiiiiiiiiii15HIP_vector_typeIjLj3EES9_, .Lfunc_end90-_ZL13mul_mat_f_idsIfLi64ELi3ELi6EEvPKT_PKfPKiS6_S6_Pfiiiiiiiiiiiiii15HIP_vector_typeIjLj3EES9_
                                        ; -- End function
	.set _ZL13mul_mat_f_idsIfLi64ELi3ELi6EEvPKT_PKfPKiS6_S6_Pfiiiiiiiiiiiiii15HIP_vector_typeIjLj3EES9_.num_vgpr, max(3, .L_ZL14no_device_codePKciS0_iS0_.num_vgpr)
	.set _ZL13mul_mat_f_idsIfLi64ELi3ELi6EEvPKT_PKfPKiS6_S6_Pfiiiiiiiiiiiiii15HIP_vector_typeIjLj3EES9_.num_agpr, max(0, .L_ZL14no_device_codePKciS0_iS0_.num_agpr)
	.set _ZL13mul_mat_f_idsIfLi64ELi3ELi6EEvPKT_PKfPKiS6_S6_Pfiiiiiiiiiiiiii15HIP_vector_typeIjLj3EES9_.numbered_sgpr, max(33, .L_ZL14no_device_codePKciS0_iS0_.numbered_sgpr)
	.set _ZL13mul_mat_f_idsIfLi64ELi3ELi6EEvPKT_PKfPKiS6_S6_Pfiiiiiiiiiiiiii15HIP_vector_typeIjLj3EES9_.num_named_barrier, max(0, .L_ZL14no_device_codePKciS0_iS0_.num_named_barrier)
	.set _ZL13mul_mat_f_idsIfLi64ELi3ELi6EEvPKT_PKfPKiS6_S6_Pfiiiiiiiiiiiiii15HIP_vector_typeIjLj3EES9_.private_seg_size, 0+max(.L_ZL14no_device_codePKciS0_iS0_.private_seg_size)
	.set _ZL13mul_mat_f_idsIfLi64ELi3ELi6EEvPKT_PKfPKiS6_S6_Pfiiiiiiiiiiiiii15HIP_vector_typeIjLj3EES9_.uses_vcc, or(1, .L_ZL14no_device_codePKciS0_iS0_.uses_vcc)
	.set _ZL13mul_mat_f_idsIfLi64ELi3ELi6EEvPKT_PKfPKiS6_S6_Pfiiiiiiiiiiiiii15HIP_vector_typeIjLj3EES9_.uses_flat_scratch, or(0, .L_ZL14no_device_codePKciS0_iS0_.uses_flat_scratch)
	.set _ZL13mul_mat_f_idsIfLi64ELi3ELi6EEvPKT_PKfPKiS6_S6_Pfiiiiiiiiiiiiii15HIP_vector_typeIjLj3EES9_.has_dyn_sized_stack, or(0, .L_ZL14no_device_codePKciS0_iS0_.has_dyn_sized_stack)
	.set _ZL13mul_mat_f_idsIfLi64ELi3ELi6EEvPKT_PKfPKiS6_S6_Pfiiiiiiiiiiiiii15HIP_vector_typeIjLj3EES9_.has_recursion, or(0, .L_ZL14no_device_codePKciS0_iS0_.has_recursion)
	.set _ZL13mul_mat_f_idsIfLi64ELi3ELi6EEvPKT_PKfPKiS6_S6_Pfiiiiiiiiiiiiii15HIP_vector_typeIjLj3EES9_.has_indirect_call, or(0, .L_ZL14no_device_codePKciS0_iS0_.has_indirect_call)
	.section	.AMDGPU.csdata,"",@progbits
; Kernel info:
; codeLenInByte = 84
; TotalNumSgprs: 38
; NumVgprs: 38
; ScratchSize: 16
; MemoryBound: 0
; FloatMode: 240
; IeeeMode: 1
; LDSByteSize: 0 bytes/workgroup (compile time only)
; SGPRBlocks: 4
; VGPRBlocks: 9
; NumSGPRsForWavesPerEU: 38
; NumVGPRsForWavesPerEU: 38
; Occupancy: 6
; WaveLimiterHint : 1
; COMPUTE_PGM_RSRC2:SCRATCH_EN: 1
; COMPUTE_PGM_RSRC2:USER_SGPR: 6
; COMPUTE_PGM_RSRC2:TRAP_HANDLER: 0
; COMPUTE_PGM_RSRC2:TGID_X_EN: 1
; COMPUTE_PGM_RSRC2:TGID_Y_EN: 0
; COMPUTE_PGM_RSRC2:TGID_Z_EN: 0
; COMPUTE_PGM_RSRC2:TIDIG_COMP_CNT: 0
	.section	.text._ZL9mul_mat_fIfLi64ELi3ELi6ELb1EEvPKT_PKfPKiPfiiiiiiiiiiiiiiii,"axG",@progbits,_ZL9mul_mat_fIfLi64ELi3ELi6ELb1EEvPKT_PKfPKiPfiiiiiiiiiiiiiiii,comdat
	.globl	_ZL9mul_mat_fIfLi64ELi3ELi6ELb1EEvPKT_PKfPKiPfiiiiiiiiiiiiiiii ; -- Begin function _ZL9mul_mat_fIfLi64ELi3ELi6ELb1EEvPKT_PKfPKiPfiiiiiiiiiiiiiiii
	.p2align	8
	.type	_ZL9mul_mat_fIfLi64ELi3ELi6ELb1EEvPKT_PKfPKiPfiiiiiiiiiiiiiiii,@function
_ZL9mul_mat_fIfLi64ELi3ELi6ELb1EEvPKT_PKfPKiPfiiiiiiiiiiiiiiii: ; @_ZL9mul_mat_fIfLi64ELi3ELi6ELb1EEvPKT_PKfPKiPfiiiiiiiiiiiiiiii
; %bb.0:
	s_add_u32 s0, s0, s7
	s_addc_u32 s1, s1, 0
	s_add_u32 s8, s4, 0x60
	s_addc_u32 s9, s5, 0
	s_getpc_b64 s[4:5]
	s_add_u32 s4, s4, __FUNCTION__._ZL9mul_mat_fIfLi32ELi3ELi1ELb1EEvPKT_PKfPKiPfiiiiiiiiiiiiiiii@rel32@lo+4
	s_addc_u32 s5, s5, __FUNCTION__._ZL9mul_mat_fIfLi32ELi3ELi1ELb1EEvPKT_PKfPKiPfiiiiiiiiiiiiiiii@rel32@hi+12
	s_getpc_b64 s[6:7]
	s_add_u32 s6, s6, _ZL14no_device_codePKciS0_iS0_@rel32@lo+4
	s_addc_u32 s7, s7, _ZL14no_device_codePKciS0_iS0_@rel32@hi+12
	v_mov_b32_e32 v0, 0x124
	v_mov_b32_e32 v1, s4
	;; [unrolled: 1-line block ×3, first 2 shown]
	s_mov_b32 s32, 0
	s_swappc_b64 s[30:31], s[6:7]
	.section	.rodata,"a",@progbits
	.p2align	6, 0x0
	.amdhsa_kernel _ZL9mul_mat_fIfLi64ELi3ELi6ELb1EEvPKT_PKfPKiPfiiiiiiiiiiiiiiii
		.amdhsa_group_segment_fixed_size 0
		.amdhsa_private_segment_fixed_size 16
		.amdhsa_kernarg_size 352
		.amdhsa_user_sgpr_count 6
		.amdhsa_user_sgpr_private_segment_buffer 1
		.amdhsa_user_sgpr_dispatch_ptr 0
		.amdhsa_user_sgpr_queue_ptr 0
		.amdhsa_user_sgpr_kernarg_segment_ptr 1
		.amdhsa_user_sgpr_dispatch_id 0
		.amdhsa_user_sgpr_flat_scratch_init 0
		.amdhsa_user_sgpr_private_segment_size 0
		.amdhsa_uses_dynamic_stack 0
		.amdhsa_system_sgpr_private_segment_wavefront_offset 1
		.amdhsa_system_sgpr_workgroup_id_x 1
		.amdhsa_system_sgpr_workgroup_id_y 0
		.amdhsa_system_sgpr_workgroup_id_z 0
		.amdhsa_system_sgpr_workgroup_info 0
		.amdhsa_system_vgpr_workitem_id 0
		.amdhsa_next_free_vgpr 38
		.amdhsa_next_free_sgpr 34
		.amdhsa_reserve_vcc 1
		.amdhsa_reserve_flat_scratch 0
		.amdhsa_float_round_mode_32 0
		.amdhsa_float_round_mode_16_64 0
		.amdhsa_float_denorm_mode_32 3
		.amdhsa_float_denorm_mode_16_64 3
		.amdhsa_dx10_clamp 1
		.amdhsa_ieee_mode 1
		.amdhsa_fp16_overflow 0
		.amdhsa_exception_fp_ieee_invalid_op 0
		.amdhsa_exception_fp_denorm_src 0
		.amdhsa_exception_fp_ieee_div_zero 0
		.amdhsa_exception_fp_ieee_overflow 0
		.amdhsa_exception_fp_ieee_underflow 0
		.amdhsa_exception_fp_ieee_inexact 0
		.amdhsa_exception_int_div_zero 0
	.end_amdhsa_kernel
	.section	.text._ZL9mul_mat_fIfLi64ELi3ELi6ELb1EEvPKT_PKfPKiPfiiiiiiiiiiiiiiii,"axG",@progbits,_ZL9mul_mat_fIfLi64ELi3ELi6ELb1EEvPKT_PKfPKiPfiiiiiiiiiiiiiiii,comdat
.Lfunc_end91:
	.size	_ZL9mul_mat_fIfLi64ELi3ELi6ELb1EEvPKT_PKfPKiPfiiiiiiiiiiiiiiii, .Lfunc_end91-_ZL9mul_mat_fIfLi64ELi3ELi6ELb1EEvPKT_PKfPKiPfiiiiiiiiiiiiiiii
                                        ; -- End function
	.set _ZL9mul_mat_fIfLi64ELi3ELi6ELb1EEvPKT_PKfPKiPfiiiiiiiiiiiiiiii.num_vgpr, max(3, .L_ZL14no_device_codePKciS0_iS0_.num_vgpr)
	.set _ZL9mul_mat_fIfLi64ELi3ELi6ELb1EEvPKT_PKfPKiPfiiiiiiiiiiiiiiii.num_agpr, max(0, .L_ZL14no_device_codePKciS0_iS0_.num_agpr)
	.set _ZL9mul_mat_fIfLi64ELi3ELi6ELb1EEvPKT_PKfPKiPfiiiiiiiiiiiiiiii.numbered_sgpr, max(33, .L_ZL14no_device_codePKciS0_iS0_.numbered_sgpr)
	.set _ZL9mul_mat_fIfLi64ELi3ELi6ELb1EEvPKT_PKfPKiPfiiiiiiiiiiiiiiii.num_named_barrier, max(0, .L_ZL14no_device_codePKciS0_iS0_.num_named_barrier)
	.set _ZL9mul_mat_fIfLi64ELi3ELi6ELb1EEvPKT_PKfPKiPfiiiiiiiiiiiiiiii.private_seg_size, 0+max(.L_ZL14no_device_codePKciS0_iS0_.private_seg_size)
	.set _ZL9mul_mat_fIfLi64ELi3ELi6ELb1EEvPKT_PKfPKiPfiiiiiiiiiiiiiiii.uses_vcc, or(1, .L_ZL14no_device_codePKciS0_iS0_.uses_vcc)
	.set _ZL9mul_mat_fIfLi64ELi3ELi6ELb1EEvPKT_PKfPKiPfiiiiiiiiiiiiiiii.uses_flat_scratch, or(0, .L_ZL14no_device_codePKciS0_iS0_.uses_flat_scratch)
	.set _ZL9mul_mat_fIfLi64ELi3ELi6ELb1EEvPKT_PKfPKiPfiiiiiiiiiiiiiiii.has_dyn_sized_stack, or(0, .L_ZL14no_device_codePKciS0_iS0_.has_dyn_sized_stack)
	.set _ZL9mul_mat_fIfLi64ELi3ELi6ELb1EEvPKT_PKfPKiPfiiiiiiiiiiiiiiii.has_recursion, or(0, .L_ZL14no_device_codePKciS0_iS0_.has_recursion)
	.set _ZL9mul_mat_fIfLi64ELi3ELi6ELb1EEvPKT_PKfPKiPfiiiiiiiiiiiiiiii.has_indirect_call, or(0, .L_ZL14no_device_codePKciS0_iS0_.has_indirect_call)
	.section	.AMDGPU.csdata,"",@progbits
; Kernel info:
; codeLenInByte = 84
; TotalNumSgprs: 38
; NumVgprs: 38
; ScratchSize: 16
; MemoryBound: 0
; FloatMode: 240
; IeeeMode: 1
; LDSByteSize: 0 bytes/workgroup (compile time only)
; SGPRBlocks: 4
; VGPRBlocks: 9
; NumSGPRsForWavesPerEU: 38
; NumVGPRsForWavesPerEU: 38
; Occupancy: 6
; WaveLimiterHint : 1
; COMPUTE_PGM_RSRC2:SCRATCH_EN: 1
; COMPUTE_PGM_RSRC2:USER_SGPR: 6
; COMPUTE_PGM_RSRC2:TRAP_HANDLER: 0
; COMPUTE_PGM_RSRC2:TGID_X_EN: 1
; COMPUTE_PGM_RSRC2:TGID_Y_EN: 0
; COMPUTE_PGM_RSRC2:TGID_Z_EN: 0
; COMPUTE_PGM_RSRC2:TIDIG_COMP_CNT: 0
	.section	.text._ZL9mul_mat_fIfLi64ELi3ELi6ELb0EEvPKT_PKfPKiPfiiiiiiiiiiiiiiii,"axG",@progbits,_ZL9mul_mat_fIfLi64ELi3ELi6ELb0EEvPKT_PKfPKiPfiiiiiiiiiiiiiiii,comdat
	.globl	_ZL9mul_mat_fIfLi64ELi3ELi6ELb0EEvPKT_PKfPKiPfiiiiiiiiiiiiiiii ; -- Begin function _ZL9mul_mat_fIfLi64ELi3ELi6ELb0EEvPKT_PKfPKiPfiiiiiiiiiiiiiiii
	.p2align	8
	.type	_ZL9mul_mat_fIfLi64ELi3ELi6ELb0EEvPKT_PKfPKiPfiiiiiiiiiiiiiiii,@function
_ZL9mul_mat_fIfLi64ELi3ELi6ELb0EEvPKT_PKfPKiPfiiiiiiiiiiiiiiii: ; @_ZL9mul_mat_fIfLi64ELi3ELi6ELb0EEvPKT_PKfPKiPfiiiiiiiiiiiiiiii
; %bb.0:
	s_add_u32 s0, s0, s7
	s_addc_u32 s1, s1, 0
	s_add_u32 s8, s4, 0x60
	s_addc_u32 s9, s5, 0
	s_getpc_b64 s[4:5]
	s_add_u32 s4, s4, __FUNCTION__._ZL9mul_mat_fIfLi32ELi3ELi1ELb1EEvPKT_PKfPKiPfiiiiiiiiiiiiiiii@rel32@lo+4
	s_addc_u32 s5, s5, __FUNCTION__._ZL9mul_mat_fIfLi32ELi3ELi1ELb1EEvPKT_PKfPKiPfiiiiiiiiiiiiiiii@rel32@hi+12
	s_getpc_b64 s[6:7]
	s_add_u32 s6, s6, _ZL14no_device_codePKciS0_iS0_@rel32@lo+4
	s_addc_u32 s7, s7, _ZL14no_device_codePKciS0_iS0_@rel32@hi+12
	v_mov_b32_e32 v0, 0x124
	v_mov_b32_e32 v1, s4
	;; [unrolled: 1-line block ×3, first 2 shown]
	s_mov_b32 s32, 0
	s_swappc_b64 s[30:31], s[6:7]
	.section	.rodata,"a",@progbits
	.p2align	6, 0x0
	.amdhsa_kernel _ZL9mul_mat_fIfLi64ELi3ELi6ELb0EEvPKT_PKfPKiPfiiiiiiiiiiiiiiii
		.amdhsa_group_segment_fixed_size 0
		.amdhsa_private_segment_fixed_size 16
		.amdhsa_kernarg_size 352
		.amdhsa_user_sgpr_count 6
		.amdhsa_user_sgpr_private_segment_buffer 1
		.amdhsa_user_sgpr_dispatch_ptr 0
		.amdhsa_user_sgpr_queue_ptr 0
		.amdhsa_user_sgpr_kernarg_segment_ptr 1
		.amdhsa_user_sgpr_dispatch_id 0
		.amdhsa_user_sgpr_flat_scratch_init 0
		.amdhsa_user_sgpr_private_segment_size 0
		.amdhsa_uses_dynamic_stack 0
		.amdhsa_system_sgpr_private_segment_wavefront_offset 1
		.amdhsa_system_sgpr_workgroup_id_x 1
		.amdhsa_system_sgpr_workgroup_id_y 0
		.amdhsa_system_sgpr_workgroup_id_z 0
		.amdhsa_system_sgpr_workgroup_info 0
		.amdhsa_system_vgpr_workitem_id 0
		.amdhsa_next_free_vgpr 38
		.amdhsa_next_free_sgpr 34
		.amdhsa_reserve_vcc 1
		.amdhsa_reserve_flat_scratch 0
		.amdhsa_float_round_mode_32 0
		.amdhsa_float_round_mode_16_64 0
		.amdhsa_float_denorm_mode_32 3
		.amdhsa_float_denorm_mode_16_64 3
		.amdhsa_dx10_clamp 1
		.amdhsa_ieee_mode 1
		.amdhsa_fp16_overflow 0
		.amdhsa_exception_fp_ieee_invalid_op 0
		.amdhsa_exception_fp_denorm_src 0
		.amdhsa_exception_fp_ieee_div_zero 0
		.amdhsa_exception_fp_ieee_overflow 0
		.amdhsa_exception_fp_ieee_underflow 0
		.amdhsa_exception_fp_ieee_inexact 0
		.amdhsa_exception_int_div_zero 0
	.end_amdhsa_kernel
	.section	.text._ZL9mul_mat_fIfLi64ELi3ELi6ELb0EEvPKT_PKfPKiPfiiiiiiiiiiiiiiii,"axG",@progbits,_ZL9mul_mat_fIfLi64ELi3ELi6ELb0EEvPKT_PKfPKiPfiiiiiiiiiiiiiiii,comdat
.Lfunc_end92:
	.size	_ZL9mul_mat_fIfLi64ELi3ELi6ELb0EEvPKT_PKfPKiPfiiiiiiiiiiiiiiii, .Lfunc_end92-_ZL9mul_mat_fIfLi64ELi3ELi6ELb0EEvPKT_PKfPKiPfiiiiiiiiiiiiiiii
                                        ; -- End function
	.set _ZL9mul_mat_fIfLi64ELi3ELi6ELb0EEvPKT_PKfPKiPfiiiiiiiiiiiiiiii.num_vgpr, max(3, .L_ZL14no_device_codePKciS0_iS0_.num_vgpr)
	.set _ZL9mul_mat_fIfLi64ELi3ELi6ELb0EEvPKT_PKfPKiPfiiiiiiiiiiiiiiii.num_agpr, max(0, .L_ZL14no_device_codePKciS0_iS0_.num_agpr)
	.set _ZL9mul_mat_fIfLi64ELi3ELi6ELb0EEvPKT_PKfPKiPfiiiiiiiiiiiiiiii.numbered_sgpr, max(33, .L_ZL14no_device_codePKciS0_iS0_.numbered_sgpr)
	.set _ZL9mul_mat_fIfLi64ELi3ELi6ELb0EEvPKT_PKfPKiPfiiiiiiiiiiiiiiii.num_named_barrier, max(0, .L_ZL14no_device_codePKciS0_iS0_.num_named_barrier)
	.set _ZL9mul_mat_fIfLi64ELi3ELi6ELb0EEvPKT_PKfPKiPfiiiiiiiiiiiiiiii.private_seg_size, 0+max(.L_ZL14no_device_codePKciS0_iS0_.private_seg_size)
	.set _ZL9mul_mat_fIfLi64ELi3ELi6ELb0EEvPKT_PKfPKiPfiiiiiiiiiiiiiiii.uses_vcc, or(1, .L_ZL14no_device_codePKciS0_iS0_.uses_vcc)
	.set _ZL9mul_mat_fIfLi64ELi3ELi6ELb0EEvPKT_PKfPKiPfiiiiiiiiiiiiiiii.uses_flat_scratch, or(0, .L_ZL14no_device_codePKciS0_iS0_.uses_flat_scratch)
	.set _ZL9mul_mat_fIfLi64ELi3ELi6ELb0EEvPKT_PKfPKiPfiiiiiiiiiiiiiiii.has_dyn_sized_stack, or(0, .L_ZL14no_device_codePKciS0_iS0_.has_dyn_sized_stack)
	.set _ZL9mul_mat_fIfLi64ELi3ELi6ELb0EEvPKT_PKfPKiPfiiiiiiiiiiiiiiii.has_recursion, or(0, .L_ZL14no_device_codePKciS0_iS0_.has_recursion)
	.set _ZL9mul_mat_fIfLi64ELi3ELi6ELb0EEvPKT_PKfPKiPfiiiiiiiiiiiiiiii.has_indirect_call, or(0, .L_ZL14no_device_codePKciS0_iS0_.has_indirect_call)
	.section	.AMDGPU.csdata,"",@progbits
; Kernel info:
; codeLenInByte = 84
; TotalNumSgprs: 38
; NumVgprs: 38
; ScratchSize: 16
; MemoryBound: 0
; FloatMode: 240
; IeeeMode: 1
; LDSByteSize: 0 bytes/workgroup (compile time only)
; SGPRBlocks: 4
; VGPRBlocks: 9
; NumSGPRsForWavesPerEU: 38
; NumVGPRsForWavesPerEU: 38
; Occupancy: 6
; WaveLimiterHint : 1
; COMPUTE_PGM_RSRC2:SCRATCH_EN: 1
; COMPUTE_PGM_RSRC2:USER_SGPR: 6
; COMPUTE_PGM_RSRC2:TRAP_HANDLER: 0
; COMPUTE_PGM_RSRC2:TGID_X_EN: 1
; COMPUTE_PGM_RSRC2:TGID_Y_EN: 0
; COMPUTE_PGM_RSRC2:TGID_Z_EN: 0
; COMPUTE_PGM_RSRC2:TIDIG_COMP_CNT: 0
	.section	.text._ZL13mul_mat_f_idsIfLi64ELi3ELi7EEvPKT_PKfPKiS6_S6_Pfiiiiiiiiiiiiii15HIP_vector_typeIjLj3EES9_,"axG",@progbits,_ZL13mul_mat_f_idsIfLi64ELi3ELi7EEvPKT_PKfPKiS6_S6_Pfiiiiiiiiiiiiii15HIP_vector_typeIjLj3EES9_,comdat
	.globl	_ZL13mul_mat_f_idsIfLi64ELi3ELi7EEvPKT_PKfPKiS6_S6_Pfiiiiiiiiiiiiii15HIP_vector_typeIjLj3EES9_ ; -- Begin function _ZL13mul_mat_f_idsIfLi64ELi3ELi7EEvPKT_PKfPKiS6_S6_Pfiiiiiiiiiiiiii15HIP_vector_typeIjLj3EES9_
	.p2align	8
	.type	_ZL13mul_mat_f_idsIfLi64ELi3ELi7EEvPKT_PKfPKiS6_S6_Pfiiiiiiiiiiiiii15HIP_vector_typeIjLj3EES9_,@function
_ZL13mul_mat_f_idsIfLi64ELi3ELi7EEvPKT_PKfPKiS6_S6_Pfiiiiiiiiiiiiii15HIP_vector_typeIjLj3EES9_: ; @_ZL13mul_mat_f_idsIfLi64ELi3ELi7EEvPKT_PKfPKiS6_S6_Pfiiiiiiiiiiiiii15HIP_vector_typeIjLj3EES9_
; %bb.0:
	s_add_u32 s0, s0, s7
	s_addc_u32 s1, s1, 0
	s_add_u32 s8, s4, 0x80
	s_addc_u32 s9, s5, 0
	s_getpc_b64 s[4:5]
	s_add_u32 s4, s4, __FUNCTION__._ZL13mul_mat_f_idsIfLi32ELi3ELi1EEvPKT_PKfPKiS6_S6_Pfiiiiiiiiiiiiii15HIP_vector_typeIjLj3EES9_@rel32@lo+4
	s_addc_u32 s5, s5, __FUNCTION__._ZL13mul_mat_f_idsIfLi32ELi3ELi1EEvPKT_PKfPKiS6_S6_Pfiiiiiiiiiiiiii15HIP_vector_typeIjLj3EES9_@rel32@hi+12
	s_getpc_b64 s[6:7]
	s_add_u32 s6, s6, _ZL14no_device_codePKciS0_iS0_@rel32@lo+4
	s_addc_u32 s7, s7, _ZL14no_device_codePKciS0_iS0_@rel32@hi+12
	v_mov_b32_e32 v0, 0x238
	v_mov_b32_e32 v1, s4
	;; [unrolled: 1-line block ×3, first 2 shown]
	s_mov_b32 s32, 0
	s_swappc_b64 s[30:31], s[6:7]
	.section	.rodata,"a",@progbits
	.p2align	6, 0x0
	.amdhsa_kernel _ZL13mul_mat_f_idsIfLi64ELi3ELi7EEvPKT_PKfPKiS6_S6_Pfiiiiiiiiiiiiii15HIP_vector_typeIjLj3EES9_
		.amdhsa_group_segment_fixed_size 0
		.amdhsa_private_segment_fixed_size 16
		.amdhsa_kernarg_size 384
		.amdhsa_user_sgpr_count 6
		.amdhsa_user_sgpr_private_segment_buffer 1
		.amdhsa_user_sgpr_dispatch_ptr 0
		.amdhsa_user_sgpr_queue_ptr 0
		.amdhsa_user_sgpr_kernarg_segment_ptr 1
		.amdhsa_user_sgpr_dispatch_id 0
		.amdhsa_user_sgpr_flat_scratch_init 0
		.amdhsa_user_sgpr_private_segment_size 0
		.amdhsa_uses_dynamic_stack 0
		.amdhsa_system_sgpr_private_segment_wavefront_offset 1
		.amdhsa_system_sgpr_workgroup_id_x 1
		.amdhsa_system_sgpr_workgroup_id_y 0
		.amdhsa_system_sgpr_workgroup_id_z 0
		.amdhsa_system_sgpr_workgroup_info 0
		.amdhsa_system_vgpr_workitem_id 0
		.amdhsa_next_free_vgpr 38
		.amdhsa_next_free_sgpr 34
		.amdhsa_reserve_vcc 1
		.amdhsa_reserve_flat_scratch 0
		.amdhsa_float_round_mode_32 0
		.amdhsa_float_round_mode_16_64 0
		.amdhsa_float_denorm_mode_32 3
		.amdhsa_float_denorm_mode_16_64 3
		.amdhsa_dx10_clamp 1
		.amdhsa_ieee_mode 1
		.amdhsa_fp16_overflow 0
		.amdhsa_exception_fp_ieee_invalid_op 0
		.amdhsa_exception_fp_denorm_src 0
		.amdhsa_exception_fp_ieee_div_zero 0
		.amdhsa_exception_fp_ieee_overflow 0
		.amdhsa_exception_fp_ieee_underflow 0
		.amdhsa_exception_fp_ieee_inexact 0
		.amdhsa_exception_int_div_zero 0
	.end_amdhsa_kernel
	.section	.text._ZL13mul_mat_f_idsIfLi64ELi3ELi7EEvPKT_PKfPKiS6_S6_Pfiiiiiiiiiiiiii15HIP_vector_typeIjLj3EES9_,"axG",@progbits,_ZL13mul_mat_f_idsIfLi64ELi3ELi7EEvPKT_PKfPKiS6_S6_Pfiiiiiiiiiiiiii15HIP_vector_typeIjLj3EES9_,comdat
.Lfunc_end93:
	.size	_ZL13mul_mat_f_idsIfLi64ELi3ELi7EEvPKT_PKfPKiS6_S6_Pfiiiiiiiiiiiiii15HIP_vector_typeIjLj3EES9_, .Lfunc_end93-_ZL13mul_mat_f_idsIfLi64ELi3ELi7EEvPKT_PKfPKiS6_S6_Pfiiiiiiiiiiiiii15HIP_vector_typeIjLj3EES9_
                                        ; -- End function
	.set _ZL13mul_mat_f_idsIfLi64ELi3ELi7EEvPKT_PKfPKiS6_S6_Pfiiiiiiiiiiiiii15HIP_vector_typeIjLj3EES9_.num_vgpr, max(3, .L_ZL14no_device_codePKciS0_iS0_.num_vgpr)
	.set _ZL13mul_mat_f_idsIfLi64ELi3ELi7EEvPKT_PKfPKiS6_S6_Pfiiiiiiiiiiiiii15HIP_vector_typeIjLj3EES9_.num_agpr, max(0, .L_ZL14no_device_codePKciS0_iS0_.num_agpr)
	.set _ZL13mul_mat_f_idsIfLi64ELi3ELi7EEvPKT_PKfPKiS6_S6_Pfiiiiiiiiiiiiii15HIP_vector_typeIjLj3EES9_.numbered_sgpr, max(33, .L_ZL14no_device_codePKciS0_iS0_.numbered_sgpr)
	.set _ZL13mul_mat_f_idsIfLi64ELi3ELi7EEvPKT_PKfPKiS6_S6_Pfiiiiiiiiiiiiii15HIP_vector_typeIjLj3EES9_.num_named_barrier, max(0, .L_ZL14no_device_codePKciS0_iS0_.num_named_barrier)
	.set _ZL13mul_mat_f_idsIfLi64ELi3ELi7EEvPKT_PKfPKiS6_S6_Pfiiiiiiiiiiiiii15HIP_vector_typeIjLj3EES9_.private_seg_size, 0+max(.L_ZL14no_device_codePKciS0_iS0_.private_seg_size)
	.set _ZL13mul_mat_f_idsIfLi64ELi3ELi7EEvPKT_PKfPKiS6_S6_Pfiiiiiiiiiiiiii15HIP_vector_typeIjLj3EES9_.uses_vcc, or(1, .L_ZL14no_device_codePKciS0_iS0_.uses_vcc)
	.set _ZL13mul_mat_f_idsIfLi64ELi3ELi7EEvPKT_PKfPKiS6_S6_Pfiiiiiiiiiiiiii15HIP_vector_typeIjLj3EES9_.uses_flat_scratch, or(0, .L_ZL14no_device_codePKciS0_iS0_.uses_flat_scratch)
	.set _ZL13mul_mat_f_idsIfLi64ELi3ELi7EEvPKT_PKfPKiS6_S6_Pfiiiiiiiiiiiiii15HIP_vector_typeIjLj3EES9_.has_dyn_sized_stack, or(0, .L_ZL14no_device_codePKciS0_iS0_.has_dyn_sized_stack)
	.set _ZL13mul_mat_f_idsIfLi64ELi3ELi7EEvPKT_PKfPKiS6_S6_Pfiiiiiiiiiiiiii15HIP_vector_typeIjLj3EES9_.has_recursion, or(0, .L_ZL14no_device_codePKciS0_iS0_.has_recursion)
	.set _ZL13mul_mat_f_idsIfLi64ELi3ELi7EEvPKT_PKfPKiS6_S6_Pfiiiiiiiiiiiiii15HIP_vector_typeIjLj3EES9_.has_indirect_call, or(0, .L_ZL14no_device_codePKciS0_iS0_.has_indirect_call)
	.section	.AMDGPU.csdata,"",@progbits
; Kernel info:
; codeLenInByte = 84
; TotalNumSgprs: 38
; NumVgprs: 38
; ScratchSize: 16
; MemoryBound: 0
; FloatMode: 240
; IeeeMode: 1
; LDSByteSize: 0 bytes/workgroup (compile time only)
; SGPRBlocks: 4
; VGPRBlocks: 9
; NumSGPRsForWavesPerEU: 38
; NumVGPRsForWavesPerEU: 38
; Occupancy: 6
; WaveLimiterHint : 1
; COMPUTE_PGM_RSRC2:SCRATCH_EN: 1
; COMPUTE_PGM_RSRC2:USER_SGPR: 6
; COMPUTE_PGM_RSRC2:TRAP_HANDLER: 0
; COMPUTE_PGM_RSRC2:TGID_X_EN: 1
; COMPUTE_PGM_RSRC2:TGID_Y_EN: 0
; COMPUTE_PGM_RSRC2:TGID_Z_EN: 0
; COMPUTE_PGM_RSRC2:TIDIG_COMP_CNT: 0
	.section	.text._ZL9mul_mat_fIfLi64ELi3ELi7ELb1EEvPKT_PKfPKiPfiiiiiiiiiiiiiiii,"axG",@progbits,_ZL9mul_mat_fIfLi64ELi3ELi7ELb1EEvPKT_PKfPKiPfiiiiiiiiiiiiiiii,comdat
	.globl	_ZL9mul_mat_fIfLi64ELi3ELi7ELb1EEvPKT_PKfPKiPfiiiiiiiiiiiiiiii ; -- Begin function _ZL9mul_mat_fIfLi64ELi3ELi7ELb1EEvPKT_PKfPKiPfiiiiiiiiiiiiiiii
	.p2align	8
	.type	_ZL9mul_mat_fIfLi64ELi3ELi7ELb1EEvPKT_PKfPKiPfiiiiiiiiiiiiiiii,@function
_ZL9mul_mat_fIfLi64ELi3ELi7ELb1EEvPKT_PKfPKiPfiiiiiiiiiiiiiiii: ; @_ZL9mul_mat_fIfLi64ELi3ELi7ELb1EEvPKT_PKfPKiPfiiiiiiiiiiiiiiii
; %bb.0:
	s_add_u32 s0, s0, s7
	s_addc_u32 s1, s1, 0
	s_add_u32 s8, s4, 0x60
	s_addc_u32 s9, s5, 0
	s_getpc_b64 s[4:5]
	s_add_u32 s4, s4, __FUNCTION__._ZL9mul_mat_fIfLi32ELi3ELi1ELb1EEvPKT_PKfPKiPfiiiiiiiiiiiiiiii@rel32@lo+4
	s_addc_u32 s5, s5, __FUNCTION__._ZL9mul_mat_fIfLi32ELi3ELi1ELb1EEvPKT_PKfPKiPfiiiiiiiiiiiiiiii@rel32@hi+12
	s_getpc_b64 s[6:7]
	s_add_u32 s6, s6, _ZL14no_device_codePKciS0_iS0_@rel32@lo+4
	s_addc_u32 s7, s7, _ZL14no_device_codePKciS0_iS0_@rel32@hi+12
	v_mov_b32_e32 v0, 0x124
	v_mov_b32_e32 v1, s4
	;; [unrolled: 1-line block ×3, first 2 shown]
	s_mov_b32 s32, 0
	s_swappc_b64 s[30:31], s[6:7]
	.section	.rodata,"a",@progbits
	.p2align	6, 0x0
	.amdhsa_kernel _ZL9mul_mat_fIfLi64ELi3ELi7ELb1EEvPKT_PKfPKiPfiiiiiiiiiiiiiiii
		.amdhsa_group_segment_fixed_size 0
		.amdhsa_private_segment_fixed_size 16
		.amdhsa_kernarg_size 352
		.amdhsa_user_sgpr_count 6
		.amdhsa_user_sgpr_private_segment_buffer 1
		.amdhsa_user_sgpr_dispatch_ptr 0
		.amdhsa_user_sgpr_queue_ptr 0
		.amdhsa_user_sgpr_kernarg_segment_ptr 1
		.amdhsa_user_sgpr_dispatch_id 0
		.amdhsa_user_sgpr_flat_scratch_init 0
		.amdhsa_user_sgpr_private_segment_size 0
		.amdhsa_uses_dynamic_stack 0
		.amdhsa_system_sgpr_private_segment_wavefront_offset 1
		.amdhsa_system_sgpr_workgroup_id_x 1
		.amdhsa_system_sgpr_workgroup_id_y 0
		.amdhsa_system_sgpr_workgroup_id_z 0
		.amdhsa_system_sgpr_workgroup_info 0
		.amdhsa_system_vgpr_workitem_id 0
		.amdhsa_next_free_vgpr 38
		.amdhsa_next_free_sgpr 34
		.amdhsa_reserve_vcc 1
		.amdhsa_reserve_flat_scratch 0
		.amdhsa_float_round_mode_32 0
		.amdhsa_float_round_mode_16_64 0
		.amdhsa_float_denorm_mode_32 3
		.amdhsa_float_denorm_mode_16_64 3
		.amdhsa_dx10_clamp 1
		.amdhsa_ieee_mode 1
		.amdhsa_fp16_overflow 0
		.amdhsa_exception_fp_ieee_invalid_op 0
		.amdhsa_exception_fp_denorm_src 0
		.amdhsa_exception_fp_ieee_div_zero 0
		.amdhsa_exception_fp_ieee_overflow 0
		.amdhsa_exception_fp_ieee_underflow 0
		.amdhsa_exception_fp_ieee_inexact 0
		.amdhsa_exception_int_div_zero 0
	.end_amdhsa_kernel
	.section	.text._ZL9mul_mat_fIfLi64ELi3ELi7ELb1EEvPKT_PKfPKiPfiiiiiiiiiiiiiiii,"axG",@progbits,_ZL9mul_mat_fIfLi64ELi3ELi7ELb1EEvPKT_PKfPKiPfiiiiiiiiiiiiiiii,comdat
.Lfunc_end94:
	.size	_ZL9mul_mat_fIfLi64ELi3ELi7ELb1EEvPKT_PKfPKiPfiiiiiiiiiiiiiiii, .Lfunc_end94-_ZL9mul_mat_fIfLi64ELi3ELi7ELb1EEvPKT_PKfPKiPfiiiiiiiiiiiiiiii
                                        ; -- End function
	.set _ZL9mul_mat_fIfLi64ELi3ELi7ELb1EEvPKT_PKfPKiPfiiiiiiiiiiiiiiii.num_vgpr, max(3, .L_ZL14no_device_codePKciS0_iS0_.num_vgpr)
	.set _ZL9mul_mat_fIfLi64ELi3ELi7ELb1EEvPKT_PKfPKiPfiiiiiiiiiiiiiiii.num_agpr, max(0, .L_ZL14no_device_codePKciS0_iS0_.num_agpr)
	.set _ZL9mul_mat_fIfLi64ELi3ELi7ELb1EEvPKT_PKfPKiPfiiiiiiiiiiiiiiii.numbered_sgpr, max(33, .L_ZL14no_device_codePKciS0_iS0_.numbered_sgpr)
	.set _ZL9mul_mat_fIfLi64ELi3ELi7ELb1EEvPKT_PKfPKiPfiiiiiiiiiiiiiiii.num_named_barrier, max(0, .L_ZL14no_device_codePKciS0_iS0_.num_named_barrier)
	.set _ZL9mul_mat_fIfLi64ELi3ELi7ELb1EEvPKT_PKfPKiPfiiiiiiiiiiiiiiii.private_seg_size, 0+max(.L_ZL14no_device_codePKciS0_iS0_.private_seg_size)
	.set _ZL9mul_mat_fIfLi64ELi3ELi7ELb1EEvPKT_PKfPKiPfiiiiiiiiiiiiiiii.uses_vcc, or(1, .L_ZL14no_device_codePKciS0_iS0_.uses_vcc)
	.set _ZL9mul_mat_fIfLi64ELi3ELi7ELb1EEvPKT_PKfPKiPfiiiiiiiiiiiiiiii.uses_flat_scratch, or(0, .L_ZL14no_device_codePKciS0_iS0_.uses_flat_scratch)
	.set _ZL9mul_mat_fIfLi64ELi3ELi7ELb1EEvPKT_PKfPKiPfiiiiiiiiiiiiiiii.has_dyn_sized_stack, or(0, .L_ZL14no_device_codePKciS0_iS0_.has_dyn_sized_stack)
	.set _ZL9mul_mat_fIfLi64ELi3ELi7ELb1EEvPKT_PKfPKiPfiiiiiiiiiiiiiiii.has_recursion, or(0, .L_ZL14no_device_codePKciS0_iS0_.has_recursion)
	.set _ZL9mul_mat_fIfLi64ELi3ELi7ELb1EEvPKT_PKfPKiPfiiiiiiiiiiiiiiii.has_indirect_call, or(0, .L_ZL14no_device_codePKciS0_iS0_.has_indirect_call)
	.section	.AMDGPU.csdata,"",@progbits
; Kernel info:
; codeLenInByte = 84
; TotalNumSgprs: 38
; NumVgprs: 38
; ScratchSize: 16
; MemoryBound: 0
; FloatMode: 240
; IeeeMode: 1
; LDSByteSize: 0 bytes/workgroup (compile time only)
; SGPRBlocks: 4
; VGPRBlocks: 9
; NumSGPRsForWavesPerEU: 38
; NumVGPRsForWavesPerEU: 38
; Occupancy: 6
; WaveLimiterHint : 1
; COMPUTE_PGM_RSRC2:SCRATCH_EN: 1
; COMPUTE_PGM_RSRC2:USER_SGPR: 6
; COMPUTE_PGM_RSRC2:TRAP_HANDLER: 0
; COMPUTE_PGM_RSRC2:TGID_X_EN: 1
; COMPUTE_PGM_RSRC2:TGID_Y_EN: 0
; COMPUTE_PGM_RSRC2:TGID_Z_EN: 0
; COMPUTE_PGM_RSRC2:TIDIG_COMP_CNT: 0
	.section	.text._ZL9mul_mat_fIfLi64ELi3ELi7ELb0EEvPKT_PKfPKiPfiiiiiiiiiiiiiiii,"axG",@progbits,_ZL9mul_mat_fIfLi64ELi3ELi7ELb0EEvPKT_PKfPKiPfiiiiiiiiiiiiiiii,comdat
	.globl	_ZL9mul_mat_fIfLi64ELi3ELi7ELb0EEvPKT_PKfPKiPfiiiiiiiiiiiiiiii ; -- Begin function _ZL9mul_mat_fIfLi64ELi3ELi7ELb0EEvPKT_PKfPKiPfiiiiiiiiiiiiiiii
	.p2align	8
	.type	_ZL9mul_mat_fIfLi64ELi3ELi7ELb0EEvPKT_PKfPKiPfiiiiiiiiiiiiiiii,@function
_ZL9mul_mat_fIfLi64ELi3ELi7ELb0EEvPKT_PKfPKiPfiiiiiiiiiiiiiiii: ; @_ZL9mul_mat_fIfLi64ELi3ELi7ELb0EEvPKT_PKfPKiPfiiiiiiiiiiiiiiii
; %bb.0:
	s_add_u32 s0, s0, s7
	s_addc_u32 s1, s1, 0
	s_add_u32 s8, s4, 0x60
	s_addc_u32 s9, s5, 0
	s_getpc_b64 s[4:5]
	s_add_u32 s4, s4, __FUNCTION__._ZL9mul_mat_fIfLi32ELi3ELi1ELb1EEvPKT_PKfPKiPfiiiiiiiiiiiiiiii@rel32@lo+4
	s_addc_u32 s5, s5, __FUNCTION__._ZL9mul_mat_fIfLi32ELi3ELi1ELb1EEvPKT_PKfPKiPfiiiiiiiiiiiiiiii@rel32@hi+12
	s_getpc_b64 s[6:7]
	s_add_u32 s6, s6, _ZL14no_device_codePKciS0_iS0_@rel32@lo+4
	s_addc_u32 s7, s7, _ZL14no_device_codePKciS0_iS0_@rel32@hi+12
	v_mov_b32_e32 v0, 0x124
	v_mov_b32_e32 v1, s4
	;; [unrolled: 1-line block ×3, first 2 shown]
	s_mov_b32 s32, 0
	s_swappc_b64 s[30:31], s[6:7]
	.section	.rodata,"a",@progbits
	.p2align	6, 0x0
	.amdhsa_kernel _ZL9mul_mat_fIfLi64ELi3ELi7ELb0EEvPKT_PKfPKiPfiiiiiiiiiiiiiiii
		.amdhsa_group_segment_fixed_size 0
		.amdhsa_private_segment_fixed_size 16
		.amdhsa_kernarg_size 352
		.amdhsa_user_sgpr_count 6
		.amdhsa_user_sgpr_private_segment_buffer 1
		.amdhsa_user_sgpr_dispatch_ptr 0
		.amdhsa_user_sgpr_queue_ptr 0
		.amdhsa_user_sgpr_kernarg_segment_ptr 1
		.amdhsa_user_sgpr_dispatch_id 0
		.amdhsa_user_sgpr_flat_scratch_init 0
		.amdhsa_user_sgpr_private_segment_size 0
		.amdhsa_uses_dynamic_stack 0
		.amdhsa_system_sgpr_private_segment_wavefront_offset 1
		.amdhsa_system_sgpr_workgroup_id_x 1
		.amdhsa_system_sgpr_workgroup_id_y 0
		.amdhsa_system_sgpr_workgroup_id_z 0
		.amdhsa_system_sgpr_workgroup_info 0
		.amdhsa_system_vgpr_workitem_id 0
		.amdhsa_next_free_vgpr 38
		.amdhsa_next_free_sgpr 34
		.amdhsa_reserve_vcc 1
		.amdhsa_reserve_flat_scratch 0
		.amdhsa_float_round_mode_32 0
		.amdhsa_float_round_mode_16_64 0
		.amdhsa_float_denorm_mode_32 3
		.amdhsa_float_denorm_mode_16_64 3
		.amdhsa_dx10_clamp 1
		.amdhsa_ieee_mode 1
		.amdhsa_fp16_overflow 0
		.amdhsa_exception_fp_ieee_invalid_op 0
		.amdhsa_exception_fp_denorm_src 0
		.amdhsa_exception_fp_ieee_div_zero 0
		.amdhsa_exception_fp_ieee_overflow 0
		.amdhsa_exception_fp_ieee_underflow 0
		.amdhsa_exception_fp_ieee_inexact 0
		.amdhsa_exception_int_div_zero 0
	.end_amdhsa_kernel
	.section	.text._ZL9mul_mat_fIfLi64ELi3ELi7ELb0EEvPKT_PKfPKiPfiiiiiiiiiiiiiiii,"axG",@progbits,_ZL9mul_mat_fIfLi64ELi3ELi7ELb0EEvPKT_PKfPKiPfiiiiiiiiiiiiiiii,comdat
.Lfunc_end95:
	.size	_ZL9mul_mat_fIfLi64ELi3ELi7ELb0EEvPKT_PKfPKiPfiiiiiiiiiiiiiiii, .Lfunc_end95-_ZL9mul_mat_fIfLi64ELi3ELi7ELb0EEvPKT_PKfPKiPfiiiiiiiiiiiiiiii
                                        ; -- End function
	.set _ZL9mul_mat_fIfLi64ELi3ELi7ELb0EEvPKT_PKfPKiPfiiiiiiiiiiiiiiii.num_vgpr, max(3, .L_ZL14no_device_codePKciS0_iS0_.num_vgpr)
	.set _ZL9mul_mat_fIfLi64ELi3ELi7ELb0EEvPKT_PKfPKiPfiiiiiiiiiiiiiiii.num_agpr, max(0, .L_ZL14no_device_codePKciS0_iS0_.num_agpr)
	.set _ZL9mul_mat_fIfLi64ELi3ELi7ELb0EEvPKT_PKfPKiPfiiiiiiiiiiiiiiii.numbered_sgpr, max(33, .L_ZL14no_device_codePKciS0_iS0_.numbered_sgpr)
	.set _ZL9mul_mat_fIfLi64ELi3ELi7ELb0EEvPKT_PKfPKiPfiiiiiiiiiiiiiiii.num_named_barrier, max(0, .L_ZL14no_device_codePKciS0_iS0_.num_named_barrier)
	.set _ZL9mul_mat_fIfLi64ELi3ELi7ELb0EEvPKT_PKfPKiPfiiiiiiiiiiiiiiii.private_seg_size, 0+max(.L_ZL14no_device_codePKciS0_iS0_.private_seg_size)
	.set _ZL9mul_mat_fIfLi64ELi3ELi7ELb0EEvPKT_PKfPKiPfiiiiiiiiiiiiiiii.uses_vcc, or(1, .L_ZL14no_device_codePKciS0_iS0_.uses_vcc)
	.set _ZL9mul_mat_fIfLi64ELi3ELi7ELb0EEvPKT_PKfPKiPfiiiiiiiiiiiiiiii.uses_flat_scratch, or(0, .L_ZL14no_device_codePKciS0_iS0_.uses_flat_scratch)
	.set _ZL9mul_mat_fIfLi64ELi3ELi7ELb0EEvPKT_PKfPKiPfiiiiiiiiiiiiiiii.has_dyn_sized_stack, or(0, .L_ZL14no_device_codePKciS0_iS0_.has_dyn_sized_stack)
	.set _ZL9mul_mat_fIfLi64ELi3ELi7ELb0EEvPKT_PKfPKiPfiiiiiiiiiiiiiiii.has_recursion, or(0, .L_ZL14no_device_codePKciS0_iS0_.has_recursion)
	.set _ZL9mul_mat_fIfLi64ELi3ELi7ELb0EEvPKT_PKfPKiPfiiiiiiiiiiiiiiii.has_indirect_call, or(0, .L_ZL14no_device_codePKciS0_iS0_.has_indirect_call)
	.section	.AMDGPU.csdata,"",@progbits
; Kernel info:
; codeLenInByte = 84
; TotalNumSgprs: 38
; NumVgprs: 38
; ScratchSize: 16
; MemoryBound: 0
; FloatMode: 240
; IeeeMode: 1
; LDSByteSize: 0 bytes/workgroup (compile time only)
; SGPRBlocks: 4
; VGPRBlocks: 9
; NumSGPRsForWavesPerEU: 38
; NumVGPRsForWavesPerEU: 38
; Occupancy: 6
; WaveLimiterHint : 1
; COMPUTE_PGM_RSRC2:SCRATCH_EN: 1
; COMPUTE_PGM_RSRC2:USER_SGPR: 6
; COMPUTE_PGM_RSRC2:TRAP_HANDLER: 0
; COMPUTE_PGM_RSRC2:TGID_X_EN: 1
; COMPUTE_PGM_RSRC2:TGID_Y_EN: 0
; COMPUTE_PGM_RSRC2:TGID_Z_EN: 0
; COMPUTE_PGM_RSRC2:TIDIG_COMP_CNT: 0
	.section	.text._ZL13mul_mat_f_idsIfLi64ELi3ELi8EEvPKT_PKfPKiS6_S6_Pfiiiiiiiiiiiiii15HIP_vector_typeIjLj3EES9_,"axG",@progbits,_ZL13mul_mat_f_idsIfLi64ELi3ELi8EEvPKT_PKfPKiS6_S6_Pfiiiiiiiiiiiiii15HIP_vector_typeIjLj3EES9_,comdat
	.globl	_ZL13mul_mat_f_idsIfLi64ELi3ELi8EEvPKT_PKfPKiS6_S6_Pfiiiiiiiiiiiiii15HIP_vector_typeIjLj3EES9_ ; -- Begin function _ZL13mul_mat_f_idsIfLi64ELi3ELi8EEvPKT_PKfPKiS6_S6_Pfiiiiiiiiiiiiii15HIP_vector_typeIjLj3EES9_
	.p2align	8
	.type	_ZL13mul_mat_f_idsIfLi64ELi3ELi8EEvPKT_PKfPKiS6_S6_Pfiiiiiiiiiiiiii15HIP_vector_typeIjLj3EES9_,@function
_ZL13mul_mat_f_idsIfLi64ELi3ELi8EEvPKT_PKfPKiS6_S6_Pfiiiiiiiiiiiiii15HIP_vector_typeIjLj3EES9_: ; @_ZL13mul_mat_f_idsIfLi64ELi3ELi8EEvPKT_PKfPKiS6_S6_Pfiiiiiiiiiiiiii15HIP_vector_typeIjLj3EES9_
; %bb.0:
	s_add_u32 s0, s0, s7
	s_addc_u32 s1, s1, 0
	s_add_u32 s8, s4, 0x80
	s_addc_u32 s9, s5, 0
	s_getpc_b64 s[4:5]
	s_add_u32 s4, s4, __FUNCTION__._ZL13mul_mat_f_idsIfLi32ELi3ELi1EEvPKT_PKfPKiS6_S6_Pfiiiiiiiiiiiiii15HIP_vector_typeIjLj3EES9_@rel32@lo+4
	s_addc_u32 s5, s5, __FUNCTION__._ZL13mul_mat_f_idsIfLi32ELi3ELi1EEvPKT_PKfPKiS6_S6_Pfiiiiiiiiiiiiii15HIP_vector_typeIjLj3EES9_@rel32@hi+12
	s_getpc_b64 s[6:7]
	s_add_u32 s6, s6, _ZL14no_device_codePKciS0_iS0_@rel32@lo+4
	s_addc_u32 s7, s7, _ZL14no_device_codePKciS0_iS0_@rel32@hi+12
	v_mov_b32_e32 v0, 0x238
	v_mov_b32_e32 v1, s4
	;; [unrolled: 1-line block ×3, first 2 shown]
	s_mov_b32 s32, 0
	s_swappc_b64 s[30:31], s[6:7]
	.section	.rodata,"a",@progbits
	.p2align	6, 0x0
	.amdhsa_kernel _ZL13mul_mat_f_idsIfLi64ELi3ELi8EEvPKT_PKfPKiS6_S6_Pfiiiiiiiiiiiiii15HIP_vector_typeIjLj3EES9_
		.amdhsa_group_segment_fixed_size 0
		.amdhsa_private_segment_fixed_size 16
		.amdhsa_kernarg_size 384
		.amdhsa_user_sgpr_count 6
		.amdhsa_user_sgpr_private_segment_buffer 1
		.amdhsa_user_sgpr_dispatch_ptr 0
		.amdhsa_user_sgpr_queue_ptr 0
		.amdhsa_user_sgpr_kernarg_segment_ptr 1
		.amdhsa_user_sgpr_dispatch_id 0
		.amdhsa_user_sgpr_flat_scratch_init 0
		.amdhsa_user_sgpr_private_segment_size 0
		.amdhsa_uses_dynamic_stack 0
		.amdhsa_system_sgpr_private_segment_wavefront_offset 1
		.amdhsa_system_sgpr_workgroup_id_x 1
		.amdhsa_system_sgpr_workgroup_id_y 0
		.amdhsa_system_sgpr_workgroup_id_z 0
		.amdhsa_system_sgpr_workgroup_info 0
		.amdhsa_system_vgpr_workitem_id 0
		.amdhsa_next_free_vgpr 38
		.amdhsa_next_free_sgpr 34
		.amdhsa_reserve_vcc 1
		.amdhsa_reserve_flat_scratch 0
		.amdhsa_float_round_mode_32 0
		.amdhsa_float_round_mode_16_64 0
		.amdhsa_float_denorm_mode_32 3
		.amdhsa_float_denorm_mode_16_64 3
		.amdhsa_dx10_clamp 1
		.amdhsa_ieee_mode 1
		.amdhsa_fp16_overflow 0
		.amdhsa_exception_fp_ieee_invalid_op 0
		.amdhsa_exception_fp_denorm_src 0
		.amdhsa_exception_fp_ieee_div_zero 0
		.amdhsa_exception_fp_ieee_overflow 0
		.amdhsa_exception_fp_ieee_underflow 0
		.amdhsa_exception_fp_ieee_inexact 0
		.amdhsa_exception_int_div_zero 0
	.end_amdhsa_kernel
	.section	.text._ZL13mul_mat_f_idsIfLi64ELi3ELi8EEvPKT_PKfPKiS6_S6_Pfiiiiiiiiiiiiii15HIP_vector_typeIjLj3EES9_,"axG",@progbits,_ZL13mul_mat_f_idsIfLi64ELi3ELi8EEvPKT_PKfPKiS6_S6_Pfiiiiiiiiiiiiii15HIP_vector_typeIjLj3EES9_,comdat
.Lfunc_end96:
	.size	_ZL13mul_mat_f_idsIfLi64ELi3ELi8EEvPKT_PKfPKiS6_S6_Pfiiiiiiiiiiiiii15HIP_vector_typeIjLj3EES9_, .Lfunc_end96-_ZL13mul_mat_f_idsIfLi64ELi3ELi8EEvPKT_PKfPKiS6_S6_Pfiiiiiiiiiiiiii15HIP_vector_typeIjLj3EES9_
                                        ; -- End function
	.set _ZL13mul_mat_f_idsIfLi64ELi3ELi8EEvPKT_PKfPKiS6_S6_Pfiiiiiiiiiiiiii15HIP_vector_typeIjLj3EES9_.num_vgpr, max(3, .L_ZL14no_device_codePKciS0_iS0_.num_vgpr)
	.set _ZL13mul_mat_f_idsIfLi64ELi3ELi8EEvPKT_PKfPKiS6_S6_Pfiiiiiiiiiiiiii15HIP_vector_typeIjLj3EES9_.num_agpr, max(0, .L_ZL14no_device_codePKciS0_iS0_.num_agpr)
	.set _ZL13mul_mat_f_idsIfLi64ELi3ELi8EEvPKT_PKfPKiS6_S6_Pfiiiiiiiiiiiiii15HIP_vector_typeIjLj3EES9_.numbered_sgpr, max(33, .L_ZL14no_device_codePKciS0_iS0_.numbered_sgpr)
	.set _ZL13mul_mat_f_idsIfLi64ELi3ELi8EEvPKT_PKfPKiS6_S6_Pfiiiiiiiiiiiiii15HIP_vector_typeIjLj3EES9_.num_named_barrier, max(0, .L_ZL14no_device_codePKciS0_iS0_.num_named_barrier)
	.set _ZL13mul_mat_f_idsIfLi64ELi3ELi8EEvPKT_PKfPKiS6_S6_Pfiiiiiiiiiiiiii15HIP_vector_typeIjLj3EES9_.private_seg_size, 0+max(.L_ZL14no_device_codePKciS0_iS0_.private_seg_size)
	.set _ZL13mul_mat_f_idsIfLi64ELi3ELi8EEvPKT_PKfPKiS6_S6_Pfiiiiiiiiiiiiii15HIP_vector_typeIjLj3EES9_.uses_vcc, or(1, .L_ZL14no_device_codePKciS0_iS0_.uses_vcc)
	.set _ZL13mul_mat_f_idsIfLi64ELi3ELi8EEvPKT_PKfPKiS6_S6_Pfiiiiiiiiiiiiii15HIP_vector_typeIjLj3EES9_.uses_flat_scratch, or(0, .L_ZL14no_device_codePKciS0_iS0_.uses_flat_scratch)
	.set _ZL13mul_mat_f_idsIfLi64ELi3ELi8EEvPKT_PKfPKiS6_S6_Pfiiiiiiiiiiiiii15HIP_vector_typeIjLj3EES9_.has_dyn_sized_stack, or(0, .L_ZL14no_device_codePKciS0_iS0_.has_dyn_sized_stack)
	.set _ZL13mul_mat_f_idsIfLi64ELi3ELi8EEvPKT_PKfPKiS6_S6_Pfiiiiiiiiiiiiii15HIP_vector_typeIjLj3EES9_.has_recursion, or(0, .L_ZL14no_device_codePKciS0_iS0_.has_recursion)
	.set _ZL13mul_mat_f_idsIfLi64ELi3ELi8EEvPKT_PKfPKiS6_S6_Pfiiiiiiiiiiiiii15HIP_vector_typeIjLj3EES9_.has_indirect_call, or(0, .L_ZL14no_device_codePKciS0_iS0_.has_indirect_call)
	.section	.AMDGPU.csdata,"",@progbits
; Kernel info:
; codeLenInByte = 84
; TotalNumSgprs: 38
; NumVgprs: 38
; ScratchSize: 16
; MemoryBound: 0
; FloatMode: 240
; IeeeMode: 1
; LDSByteSize: 0 bytes/workgroup (compile time only)
; SGPRBlocks: 4
; VGPRBlocks: 9
; NumSGPRsForWavesPerEU: 38
; NumVGPRsForWavesPerEU: 38
; Occupancy: 6
; WaveLimiterHint : 1
; COMPUTE_PGM_RSRC2:SCRATCH_EN: 1
; COMPUTE_PGM_RSRC2:USER_SGPR: 6
; COMPUTE_PGM_RSRC2:TRAP_HANDLER: 0
; COMPUTE_PGM_RSRC2:TGID_X_EN: 1
; COMPUTE_PGM_RSRC2:TGID_Y_EN: 0
; COMPUTE_PGM_RSRC2:TGID_Z_EN: 0
; COMPUTE_PGM_RSRC2:TIDIG_COMP_CNT: 0
	.section	.text._ZL9mul_mat_fIfLi64ELi3ELi8ELb1EEvPKT_PKfPKiPfiiiiiiiiiiiiiiii,"axG",@progbits,_ZL9mul_mat_fIfLi64ELi3ELi8ELb1EEvPKT_PKfPKiPfiiiiiiiiiiiiiiii,comdat
	.globl	_ZL9mul_mat_fIfLi64ELi3ELi8ELb1EEvPKT_PKfPKiPfiiiiiiiiiiiiiiii ; -- Begin function _ZL9mul_mat_fIfLi64ELi3ELi8ELb1EEvPKT_PKfPKiPfiiiiiiiiiiiiiiii
	.p2align	8
	.type	_ZL9mul_mat_fIfLi64ELi3ELi8ELb1EEvPKT_PKfPKiPfiiiiiiiiiiiiiiii,@function
_ZL9mul_mat_fIfLi64ELi3ELi8ELb1EEvPKT_PKfPKiPfiiiiiiiiiiiiiiii: ; @_ZL9mul_mat_fIfLi64ELi3ELi8ELb1EEvPKT_PKfPKiPfiiiiiiiiiiiiiiii
; %bb.0:
	s_add_u32 s0, s0, s7
	s_addc_u32 s1, s1, 0
	s_add_u32 s8, s4, 0x60
	s_addc_u32 s9, s5, 0
	s_getpc_b64 s[4:5]
	s_add_u32 s4, s4, __FUNCTION__._ZL9mul_mat_fIfLi32ELi3ELi1ELb1EEvPKT_PKfPKiPfiiiiiiiiiiiiiiii@rel32@lo+4
	s_addc_u32 s5, s5, __FUNCTION__._ZL9mul_mat_fIfLi32ELi3ELi1ELb1EEvPKT_PKfPKiPfiiiiiiiiiiiiiiii@rel32@hi+12
	s_getpc_b64 s[6:7]
	s_add_u32 s6, s6, _ZL14no_device_codePKciS0_iS0_@rel32@lo+4
	s_addc_u32 s7, s7, _ZL14no_device_codePKciS0_iS0_@rel32@hi+12
	v_mov_b32_e32 v0, 0x124
	v_mov_b32_e32 v1, s4
	;; [unrolled: 1-line block ×3, first 2 shown]
	s_mov_b32 s32, 0
	s_swappc_b64 s[30:31], s[6:7]
	.section	.rodata,"a",@progbits
	.p2align	6, 0x0
	.amdhsa_kernel _ZL9mul_mat_fIfLi64ELi3ELi8ELb1EEvPKT_PKfPKiPfiiiiiiiiiiiiiiii
		.amdhsa_group_segment_fixed_size 0
		.amdhsa_private_segment_fixed_size 16
		.amdhsa_kernarg_size 352
		.amdhsa_user_sgpr_count 6
		.amdhsa_user_sgpr_private_segment_buffer 1
		.amdhsa_user_sgpr_dispatch_ptr 0
		.amdhsa_user_sgpr_queue_ptr 0
		.amdhsa_user_sgpr_kernarg_segment_ptr 1
		.amdhsa_user_sgpr_dispatch_id 0
		.amdhsa_user_sgpr_flat_scratch_init 0
		.amdhsa_user_sgpr_private_segment_size 0
		.amdhsa_uses_dynamic_stack 0
		.amdhsa_system_sgpr_private_segment_wavefront_offset 1
		.amdhsa_system_sgpr_workgroup_id_x 1
		.amdhsa_system_sgpr_workgroup_id_y 0
		.amdhsa_system_sgpr_workgroup_id_z 0
		.amdhsa_system_sgpr_workgroup_info 0
		.amdhsa_system_vgpr_workitem_id 0
		.amdhsa_next_free_vgpr 38
		.amdhsa_next_free_sgpr 34
		.amdhsa_reserve_vcc 1
		.amdhsa_reserve_flat_scratch 0
		.amdhsa_float_round_mode_32 0
		.amdhsa_float_round_mode_16_64 0
		.amdhsa_float_denorm_mode_32 3
		.amdhsa_float_denorm_mode_16_64 3
		.amdhsa_dx10_clamp 1
		.amdhsa_ieee_mode 1
		.amdhsa_fp16_overflow 0
		.amdhsa_exception_fp_ieee_invalid_op 0
		.amdhsa_exception_fp_denorm_src 0
		.amdhsa_exception_fp_ieee_div_zero 0
		.amdhsa_exception_fp_ieee_overflow 0
		.amdhsa_exception_fp_ieee_underflow 0
		.amdhsa_exception_fp_ieee_inexact 0
		.amdhsa_exception_int_div_zero 0
	.end_amdhsa_kernel
	.section	.text._ZL9mul_mat_fIfLi64ELi3ELi8ELb1EEvPKT_PKfPKiPfiiiiiiiiiiiiiiii,"axG",@progbits,_ZL9mul_mat_fIfLi64ELi3ELi8ELb1EEvPKT_PKfPKiPfiiiiiiiiiiiiiiii,comdat
.Lfunc_end97:
	.size	_ZL9mul_mat_fIfLi64ELi3ELi8ELb1EEvPKT_PKfPKiPfiiiiiiiiiiiiiiii, .Lfunc_end97-_ZL9mul_mat_fIfLi64ELi3ELi8ELb1EEvPKT_PKfPKiPfiiiiiiiiiiiiiiii
                                        ; -- End function
	.set _ZL9mul_mat_fIfLi64ELi3ELi8ELb1EEvPKT_PKfPKiPfiiiiiiiiiiiiiiii.num_vgpr, max(3, .L_ZL14no_device_codePKciS0_iS0_.num_vgpr)
	.set _ZL9mul_mat_fIfLi64ELi3ELi8ELb1EEvPKT_PKfPKiPfiiiiiiiiiiiiiiii.num_agpr, max(0, .L_ZL14no_device_codePKciS0_iS0_.num_agpr)
	.set _ZL9mul_mat_fIfLi64ELi3ELi8ELb1EEvPKT_PKfPKiPfiiiiiiiiiiiiiiii.numbered_sgpr, max(33, .L_ZL14no_device_codePKciS0_iS0_.numbered_sgpr)
	.set _ZL9mul_mat_fIfLi64ELi3ELi8ELb1EEvPKT_PKfPKiPfiiiiiiiiiiiiiiii.num_named_barrier, max(0, .L_ZL14no_device_codePKciS0_iS0_.num_named_barrier)
	.set _ZL9mul_mat_fIfLi64ELi3ELi8ELb1EEvPKT_PKfPKiPfiiiiiiiiiiiiiiii.private_seg_size, 0+max(.L_ZL14no_device_codePKciS0_iS0_.private_seg_size)
	.set _ZL9mul_mat_fIfLi64ELi3ELi8ELb1EEvPKT_PKfPKiPfiiiiiiiiiiiiiiii.uses_vcc, or(1, .L_ZL14no_device_codePKciS0_iS0_.uses_vcc)
	.set _ZL9mul_mat_fIfLi64ELi3ELi8ELb1EEvPKT_PKfPKiPfiiiiiiiiiiiiiiii.uses_flat_scratch, or(0, .L_ZL14no_device_codePKciS0_iS0_.uses_flat_scratch)
	.set _ZL9mul_mat_fIfLi64ELi3ELi8ELb1EEvPKT_PKfPKiPfiiiiiiiiiiiiiiii.has_dyn_sized_stack, or(0, .L_ZL14no_device_codePKciS0_iS0_.has_dyn_sized_stack)
	.set _ZL9mul_mat_fIfLi64ELi3ELi8ELb1EEvPKT_PKfPKiPfiiiiiiiiiiiiiiii.has_recursion, or(0, .L_ZL14no_device_codePKciS0_iS0_.has_recursion)
	.set _ZL9mul_mat_fIfLi64ELi3ELi8ELb1EEvPKT_PKfPKiPfiiiiiiiiiiiiiiii.has_indirect_call, or(0, .L_ZL14no_device_codePKciS0_iS0_.has_indirect_call)
	.section	.AMDGPU.csdata,"",@progbits
; Kernel info:
; codeLenInByte = 84
; TotalNumSgprs: 38
; NumVgprs: 38
; ScratchSize: 16
; MemoryBound: 0
; FloatMode: 240
; IeeeMode: 1
; LDSByteSize: 0 bytes/workgroup (compile time only)
; SGPRBlocks: 4
; VGPRBlocks: 9
; NumSGPRsForWavesPerEU: 38
; NumVGPRsForWavesPerEU: 38
; Occupancy: 6
; WaveLimiterHint : 1
; COMPUTE_PGM_RSRC2:SCRATCH_EN: 1
; COMPUTE_PGM_RSRC2:USER_SGPR: 6
; COMPUTE_PGM_RSRC2:TRAP_HANDLER: 0
; COMPUTE_PGM_RSRC2:TGID_X_EN: 1
; COMPUTE_PGM_RSRC2:TGID_Y_EN: 0
; COMPUTE_PGM_RSRC2:TGID_Z_EN: 0
; COMPUTE_PGM_RSRC2:TIDIG_COMP_CNT: 0
	.section	.text._ZL9mul_mat_fIfLi64ELi3ELi8ELb0EEvPKT_PKfPKiPfiiiiiiiiiiiiiiii,"axG",@progbits,_ZL9mul_mat_fIfLi64ELi3ELi8ELb0EEvPKT_PKfPKiPfiiiiiiiiiiiiiiii,comdat
	.globl	_ZL9mul_mat_fIfLi64ELi3ELi8ELb0EEvPKT_PKfPKiPfiiiiiiiiiiiiiiii ; -- Begin function _ZL9mul_mat_fIfLi64ELi3ELi8ELb0EEvPKT_PKfPKiPfiiiiiiiiiiiiiiii
	.p2align	8
	.type	_ZL9mul_mat_fIfLi64ELi3ELi8ELb0EEvPKT_PKfPKiPfiiiiiiiiiiiiiiii,@function
_ZL9mul_mat_fIfLi64ELi3ELi8ELb0EEvPKT_PKfPKiPfiiiiiiiiiiiiiiii: ; @_ZL9mul_mat_fIfLi64ELi3ELi8ELb0EEvPKT_PKfPKiPfiiiiiiiiiiiiiiii
; %bb.0:
	s_add_u32 s0, s0, s7
	s_addc_u32 s1, s1, 0
	s_add_u32 s8, s4, 0x60
	s_addc_u32 s9, s5, 0
	s_getpc_b64 s[4:5]
	s_add_u32 s4, s4, __FUNCTION__._ZL9mul_mat_fIfLi32ELi3ELi1ELb1EEvPKT_PKfPKiPfiiiiiiiiiiiiiiii@rel32@lo+4
	s_addc_u32 s5, s5, __FUNCTION__._ZL9mul_mat_fIfLi32ELi3ELi1ELb1EEvPKT_PKfPKiPfiiiiiiiiiiiiiiii@rel32@hi+12
	s_getpc_b64 s[6:7]
	s_add_u32 s6, s6, _ZL14no_device_codePKciS0_iS0_@rel32@lo+4
	s_addc_u32 s7, s7, _ZL14no_device_codePKciS0_iS0_@rel32@hi+12
	v_mov_b32_e32 v0, 0x124
	v_mov_b32_e32 v1, s4
	;; [unrolled: 1-line block ×3, first 2 shown]
	s_mov_b32 s32, 0
	s_swappc_b64 s[30:31], s[6:7]
	.section	.rodata,"a",@progbits
	.p2align	6, 0x0
	.amdhsa_kernel _ZL9mul_mat_fIfLi64ELi3ELi8ELb0EEvPKT_PKfPKiPfiiiiiiiiiiiiiiii
		.amdhsa_group_segment_fixed_size 0
		.amdhsa_private_segment_fixed_size 16
		.amdhsa_kernarg_size 352
		.amdhsa_user_sgpr_count 6
		.amdhsa_user_sgpr_private_segment_buffer 1
		.amdhsa_user_sgpr_dispatch_ptr 0
		.amdhsa_user_sgpr_queue_ptr 0
		.amdhsa_user_sgpr_kernarg_segment_ptr 1
		.amdhsa_user_sgpr_dispatch_id 0
		.amdhsa_user_sgpr_flat_scratch_init 0
		.amdhsa_user_sgpr_private_segment_size 0
		.amdhsa_uses_dynamic_stack 0
		.amdhsa_system_sgpr_private_segment_wavefront_offset 1
		.amdhsa_system_sgpr_workgroup_id_x 1
		.amdhsa_system_sgpr_workgroup_id_y 0
		.amdhsa_system_sgpr_workgroup_id_z 0
		.amdhsa_system_sgpr_workgroup_info 0
		.amdhsa_system_vgpr_workitem_id 0
		.amdhsa_next_free_vgpr 38
		.amdhsa_next_free_sgpr 34
		.amdhsa_reserve_vcc 1
		.amdhsa_reserve_flat_scratch 0
		.amdhsa_float_round_mode_32 0
		.amdhsa_float_round_mode_16_64 0
		.amdhsa_float_denorm_mode_32 3
		.amdhsa_float_denorm_mode_16_64 3
		.amdhsa_dx10_clamp 1
		.amdhsa_ieee_mode 1
		.amdhsa_fp16_overflow 0
		.amdhsa_exception_fp_ieee_invalid_op 0
		.amdhsa_exception_fp_denorm_src 0
		.amdhsa_exception_fp_ieee_div_zero 0
		.amdhsa_exception_fp_ieee_overflow 0
		.amdhsa_exception_fp_ieee_underflow 0
		.amdhsa_exception_fp_ieee_inexact 0
		.amdhsa_exception_int_div_zero 0
	.end_amdhsa_kernel
	.section	.text._ZL9mul_mat_fIfLi64ELi3ELi8ELb0EEvPKT_PKfPKiPfiiiiiiiiiiiiiiii,"axG",@progbits,_ZL9mul_mat_fIfLi64ELi3ELi8ELb0EEvPKT_PKfPKiPfiiiiiiiiiiiiiiii,comdat
.Lfunc_end98:
	.size	_ZL9mul_mat_fIfLi64ELi3ELi8ELb0EEvPKT_PKfPKiPfiiiiiiiiiiiiiiii, .Lfunc_end98-_ZL9mul_mat_fIfLi64ELi3ELi8ELb0EEvPKT_PKfPKiPfiiiiiiiiiiiiiiii
                                        ; -- End function
	.set _ZL9mul_mat_fIfLi64ELi3ELi8ELb0EEvPKT_PKfPKiPfiiiiiiiiiiiiiiii.num_vgpr, max(3, .L_ZL14no_device_codePKciS0_iS0_.num_vgpr)
	.set _ZL9mul_mat_fIfLi64ELi3ELi8ELb0EEvPKT_PKfPKiPfiiiiiiiiiiiiiiii.num_agpr, max(0, .L_ZL14no_device_codePKciS0_iS0_.num_agpr)
	.set _ZL9mul_mat_fIfLi64ELi3ELi8ELb0EEvPKT_PKfPKiPfiiiiiiiiiiiiiiii.numbered_sgpr, max(33, .L_ZL14no_device_codePKciS0_iS0_.numbered_sgpr)
	.set _ZL9mul_mat_fIfLi64ELi3ELi8ELb0EEvPKT_PKfPKiPfiiiiiiiiiiiiiiii.num_named_barrier, max(0, .L_ZL14no_device_codePKciS0_iS0_.num_named_barrier)
	.set _ZL9mul_mat_fIfLi64ELi3ELi8ELb0EEvPKT_PKfPKiPfiiiiiiiiiiiiiiii.private_seg_size, 0+max(.L_ZL14no_device_codePKciS0_iS0_.private_seg_size)
	.set _ZL9mul_mat_fIfLi64ELi3ELi8ELb0EEvPKT_PKfPKiPfiiiiiiiiiiiiiiii.uses_vcc, or(1, .L_ZL14no_device_codePKciS0_iS0_.uses_vcc)
	.set _ZL9mul_mat_fIfLi64ELi3ELi8ELb0EEvPKT_PKfPKiPfiiiiiiiiiiiiiiii.uses_flat_scratch, or(0, .L_ZL14no_device_codePKciS0_iS0_.uses_flat_scratch)
	.set _ZL9mul_mat_fIfLi64ELi3ELi8ELb0EEvPKT_PKfPKiPfiiiiiiiiiiiiiiii.has_dyn_sized_stack, or(0, .L_ZL14no_device_codePKciS0_iS0_.has_dyn_sized_stack)
	.set _ZL9mul_mat_fIfLi64ELi3ELi8ELb0EEvPKT_PKfPKiPfiiiiiiiiiiiiiiii.has_recursion, or(0, .L_ZL14no_device_codePKciS0_iS0_.has_recursion)
	.set _ZL9mul_mat_fIfLi64ELi3ELi8ELb0EEvPKT_PKfPKiPfiiiiiiiiiiiiiiii.has_indirect_call, or(0, .L_ZL14no_device_codePKciS0_iS0_.has_indirect_call)
	.section	.AMDGPU.csdata,"",@progbits
; Kernel info:
; codeLenInByte = 84
; TotalNumSgprs: 38
; NumVgprs: 38
; ScratchSize: 16
; MemoryBound: 0
; FloatMode: 240
; IeeeMode: 1
; LDSByteSize: 0 bytes/workgroup (compile time only)
; SGPRBlocks: 4
; VGPRBlocks: 9
; NumSGPRsForWavesPerEU: 38
; NumVGPRsForWavesPerEU: 38
; Occupancy: 6
; WaveLimiterHint : 1
; COMPUTE_PGM_RSRC2:SCRATCH_EN: 1
; COMPUTE_PGM_RSRC2:USER_SGPR: 6
; COMPUTE_PGM_RSRC2:TRAP_HANDLER: 0
; COMPUTE_PGM_RSRC2:TGID_X_EN: 1
; COMPUTE_PGM_RSRC2:TGID_Y_EN: 0
; COMPUTE_PGM_RSRC2:TGID_Z_EN: 0
; COMPUTE_PGM_RSRC2:TIDIG_COMP_CNT: 0
	.section	.text._ZL13mul_mat_f_idsI7__half2Li64ELi3ELi1EEvPKT_PKfPKiS7_S7_Pfiiiiiiiiiiiiii15HIP_vector_typeIjLj3EESA_,"axG",@progbits,_ZL13mul_mat_f_idsI7__half2Li64ELi3ELi1EEvPKT_PKfPKiS7_S7_Pfiiiiiiiiiiiiii15HIP_vector_typeIjLj3EESA_,comdat
	.globl	_ZL13mul_mat_f_idsI7__half2Li64ELi3ELi1EEvPKT_PKfPKiS7_S7_Pfiiiiiiiiiiiiii15HIP_vector_typeIjLj3EESA_ ; -- Begin function _ZL13mul_mat_f_idsI7__half2Li64ELi3ELi1EEvPKT_PKfPKiS7_S7_Pfiiiiiiiiiiiiii15HIP_vector_typeIjLj3EESA_
	.p2align	8
	.type	_ZL13mul_mat_f_idsI7__half2Li64ELi3ELi1EEvPKT_PKfPKiS7_S7_Pfiiiiiiiiiiiiii15HIP_vector_typeIjLj3EESA_,@function
_ZL13mul_mat_f_idsI7__half2Li64ELi3ELi1EEvPKT_PKfPKiS7_S7_Pfiiiiiiiiiiiiii15HIP_vector_typeIjLj3EESA_: ; @_ZL13mul_mat_f_idsI7__half2Li64ELi3ELi1EEvPKT_PKfPKiS7_S7_Pfiiiiiiiiiiiiii15HIP_vector_typeIjLj3EESA_
; %bb.0:
	s_add_u32 s0, s0, s7
	s_addc_u32 s1, s1, 0
	s_add_u32 s8, s4, 0x80
	s_addc_u32 s9, s5, 0
	s_getpc_b64 s[4:5]
	s_add_u32 s4, s4, __FUNCTION__._ZL13mul_mat_f_idsIfLi32ELi3ELi1EEvPKT_PKfPKiS6_S6_Pfiiiiiiiiiiiiii15HIP_vector_typeIjLj3EES9_@rel32@lo+4
	s_addc_u32 s5, s5, __FUNCTION__._ZL13mul_mat_f_idsIfLi32ELi3ELi1EEvPKT_PKfPKiS6_S6_Pfiiiiiiiiiiiiii15HIP_vector_typeIjLj3EES9_@rel32@hi+12
	s_getpc_b64 s[6:7]
	s_add_u32 s6, s6, _ZL14no_device_codePKciS0_iS0_@rel32@lo+4
	s_addc_u32 s7, s7, _ZL14no_device_codePKciS0_iS0_@rel32@hi+12
	v_mov_b32_e32 v0, 0x238
	v_mov_b32_e32 v1, s4
	v_mov_b32_e32 v2, s5
	s_mov_b32 s32, 0
	s_swappc_b64 s[30:31], s[6:7]
	.section	.rodata,"a",@progbits
	.p2align	6, 0x0
	.amdhsa_kernel _ZL13mul_mat_f_idsI7__half2Li64ELi3ELi1EEvPKT_PKfPKiS7_S7_Pfiiiiiiiiiiiiii15HIP_vector_typeIjLj3EESA_
		.amdhsa_group_segment_fixed_size 0
		.amdhsa_private_segment_fixed_size 16
		.amdhsa_kernarg_size 384
		.amdhsa_user_sgpr_count 6
		.amdhsa_user_sgpr_private_segment_buffer 1
		.amdhsa_user_sgpr_dispatch_ptr 0
		.amdhsa_user_sgpr_queue_ptr 0
		.amdhsa_user_sgpr_kernarg_segment_ptr 1
		.amdhsa_user_sgpr_dispatch_id 0
		.amdhsa_user_sgpr_flat_scratch_init 0
		.amdhsa_user_sgpr_private_segment_size 0
		.amdhsa_uses_dynamic_stack 0
		.amdhsa_system_sgpr_private_segment_wavefront_offset 1
		.amdhsa_system_sgpr_workgroup_id_x 1
		.amdhsa_system_sgpr_workgroup_id_y 0
		.amdhsa_system_sgpr_workgroup_id_z 0
		.amdhsa_system_sgpr_workgroup_info 0
		.amdhsa_system_vgpr_workitem_id 0
		.amdhsa_next_free_vgpr 38
		.amdhsa_next_free_sgpr 34
		.amdhsa_reserve_vcc 1
		.amdhsa_reserve_flat_scratch 0
		.amdhsa_float_round_mode_32 0
		.amdhsa_float_round_mode_16_64 0
		.amdhsa_float_denorm_mode_32 3
		.amdhsa_float_denorm_mode_16_64 3
		.amdhsa_dx10_clamp 1
		.amdhsa_ieee_mode 1
		.amdhsa_fp16_overflow 0
		.amdhsa_exception_fp_ieee_invalid_op 0
		.amdhsa_exception_fp_denorm_src 0
		.amdhsa_exception_fp_ieee_div_zero 0
		.amdhsa_exception_fp_ieee_overflow 0
		.amdhsa_exception_fp_ieee_underflow 0
		.amdhsa_exception_fp_ieee_inexact 0
		.amdhsa_exception_int_div_zero 0
	.end_amdhsa_kernel
	.section	.text._ZL13mul_mat_f_idsI7__half2Li64ELi3ELi1EEvPKT_PKfPKiS7_S7_Pfiiiiiiiiiiiiii15HIP_vector_typeIjLj3EESA_,"axG",@progbits,_ZL13mul_mat_f_idsI7__half2Li64ELi3ELi1EEvPKT_PKfPKiS7_S7_Pfiiiiiiiiiiiiii15HIP_vector_typeIjLj3EESA_,comdat
.Lfunc_end99:
	.size	_ZL13mul_mat_f_idsI7__half2Li64ELi3ELi1EEvPKT_PKfPKiS7_S7_Pfiiiiiiiiiiiiii15HIP_vector_typeIjLj3EESA_, .Lfunc_end99-_ZL13mul_mat_f_idsI7__half2Li64ELi3ELi1EEvPKT_PKfPKiS7_S7_Pfiiiiiiiiiiiiii15HIP_vector_typeIjLj3EESA_
                                        ; -- End function
	.set _ZL13mul_mat_f_idsI7__half2Li64ELi3ELi1EEvPKT_PKfPKiS7_S7_Pfiiiiiiiiiiiiii15HIP_vector_typeIjLj3EESA_.num_vgpr, max(3, .L_ZL14no_device_codePKciS0_iS0_.num_vgpr)
	.set _ZL13mul_mat_f_idsI7__half2Li64ELi3ELi1EEvPKT_PKfPKiS7_S7_Pfiiiiiiiiiiiiii15HIP_vector_typeIjLj3EESA_.num_agpr, max(0, .L_ZL14no_device_codePKciS0_iS0_.num_agpr)
	.set _ZL13mul_mat_f_idsI7__half2Li64ELi3ELi1EEvPKT_PKfPKiS7_S7_Pfiiiiiiiiiiiiii15HIP_vector_typeIjLj3EESA_.numbered_sgpr, max(33, .L_ZL14no_device_codePKciS0_iS0_.numbered_sgpr)
	.set _ZL13mul_mat_f_idsI7__half2Li64ELi3ELi1EEvPKT_PKfPKiS7_S7_Pfiiiiiiiiiiiiii15HIP_vector_typeIjLj3EESA_.num_named_barrier, max(0, .L_ZL14no_device_codePKciS0_iS0_.num_named_barrier)
	.set _ZL13mul_mat_f_idsI7__half2Li64ELi3ELi1EEvPKT_PKfPKiS7_S7_Pfiiiiiiiiiiiiii15HIP_vector_typeIjLj3EESA_.private_seg_size, 0+max(.L_ZL14no_device_codePKciS0_iS0_.private_seg_size)
	.set _ZL13mul_mat_f_idsI7__half2Li64ELi3ELi1EEvPKT_PKfPKiS7_S7_Pfiiiiiiiiiiiiii15HIP_vector_typeIjLj3EESA_.uses_vcc, or(1, .L_ZL14no_device_codePKciS0_iS0_.uses_vcc)
	.set _ZL13mul_mat_f_idsI7__half2Li64ELi3ELi1EEvPKT_PKfPKiS7_S7_Pfiiiiiiiiiiiiii15HIP_vector_typeIjLj3EESA_.uses_flat_scratch, or(0, .L_ZL14no_device_codePKciS0_iS0_.uses_flat_scratch)
	.set _ZL13mul_mat_f_idsI7__half2Li64ELi3ELi1EEvPKT_PKfPKiS7_S7_Pfiiiiiiiiiiiiii15HIP_vector_typeIjLj3EESA_.has_dyn_sized_stack, or(0, .L_ZL14no_device_codePKciS0_iS0_.has_dyn_sized_stack)
	.set _ZL13mul_mat_f_idsI7__half2Li64ELi3ELi1EEvPKT_PKfPKiS7_S7_Pfiiiiiiiiiiiiii15HIP_vector_typeIjLj3EESA_.has_recursion, or(0, .L_ZL14no_device_codePKciS0_iS0_.has_recursion)
	.set _ZL13mul_mat_f_idsI7__half2Li64ELi3ELi1EEvPKT_PKfPKiS7_S7_Pfiiiiiiiiiiiiii15HIP_vector_typeIjLj3EESA_.has_indirect_call, or(0, .L_ZL14no_device_codePKciS0_iS0_.has_indirect_call)
	.section	.AMDGPU.csdata,"",@progbits
; Kernel info:
; codeLenInByte = 84
; TotalNumSgprs: 38
; NumVgprs: 38
; ScratchSize: 16
; MemoryBound: 0
; FloatMode: 240
; IeeeMode: 1
; LDSByteSize: 0 bytes/workgroup (compile time only)
; SGPRBlocks: 4
; VGPRBlocks: 9
; NumSGPRsForWavesPerEU: 38
; NumVGPRsForWavesPerEU: 38
; Occupancy: 6
; WaveLimiterHint : 1
; COMPUTE_PGM_RSRC2:SCRATCH_EN: 1
; COMPUTE_PGM_RSRC2:USER_SGPR: 6
; COMPUTE_PGM_RSRC2:TRAP_HANDLER: 0
; COMPUTE_PGM_RSRC2:TGID_X_EN: 1
; COMPUTE_PGM_RSRC2:TGID_Y_EN: 0
; COMPUTE_PGM_RSRC2:TGID_Z_EN: 0
; COMPUTE_PGM_RSRC2:TIDIG_COMP_CNT: 0
	.section	.text._ZL9mul_mat_fI7__half2Li64ELi3ELi1ELb1EEvPKT_PKfPKiPfiiiiiiiiiiiiiiii,"axG",@progbits,_ZL9mul_mat_fI7__half2Li64ELi3ELi1ELb1EEvPKT_PKfPKiPfiiiiiiiiiiiiiiii,comdat
	.globl	_ZL9mul_mat_fI7__half2Li64ELi3ELi1ELb1EEvPKT_PKfPKiPfiiiiiiiiiiiiiiii ; -- Begin function _ZL9mul_mat_fI7__half2Li64ELi3ELi1ELb1EEvPKT_PKfPKiPfiiiiiiiiiiiiiiii
	.p2align	8
	.type	_ZL9mul_mat_fI7__half2Li64ELi3ELi1ELb1EEvPKT_PKfPKiPfiiiiiiiiiiiiiiii,@function
_ZL9mul_mat_fI7__half2Li64ELi3ELi1ELb1EEvPKT_PKfPKiPfiiiiiiiiiiiiiiii: ; @_ZL9mul_mat_fI7__half2Li64ELi3ELi1ELb1EEvPKT_PKfPKiPfiiiiiiiiiiiiiiii
; %bb.0:
	s_add_u32 s0, s0, s7
	s_addc_u32 s1, s1, 0
	s_add_u32 s8, s4, 0x60
	s_addc_u32 s9, s5, 0
	s_getpc_b64 s[4:5]
	s_add_u32 s4, s4, __FUNCTION__._ZL9mul_mat_fIfLi32ELi3ELi1ELb1EEvPKT_PKfPKiPfiiiiiiiiiiiiiiii@rel32@lo+4
	s_addc_u32 s5, s5, __FUNCTION__._ZL9mul_mat_fIfLi32ELi3ELi1ELb1EEvPKT_PKfPKiPfiiiiiiiiiiiiiiii@rel32@hi+12
	s_getpc_b64 s[6:7]
	s_add_u32 s6, s6, _ZL14no_device_codePKciS0_iS0_@rel32@lo+4
	s_addc_u32 s7, s7, _ZL14no_device_codePKciS0_iS0_@rel32@hi+12
	v_mov_b32_e32 v0, 0x124
	v_mov_b32_e32 v1, s4
	;; [unrolled: 1-line block ×3, first 2 shown]
	s_mov_b32 s32, 0
	s_swappc_b64 s[30:31], s[6:7]
	.section	.rodata,"a",@progbits
	.p2align	6, 0x0
	.amdhsa_kernel _ZL9mul_mat_fI7__half2Li64ELi3ELi1ELb1EEvPKT_PKfPKiPfiiiiiiiiiiiiiiii
		.amdhsa_group_segment_fixed_size 0
		.amdhsa_private_segment_fixed_size 16
		.amdhsa_kernarg_size 352
		.amdhsa_user_sgpr_count 6
		.amdhsa_user_sgpr_private_segment_buffer 1
		.amdhsa_user_sgpr_dispatch_ptr 0
		.amdhsa_user_sgpr_queue_ptr 0
		.amdhsa_user_sgpr_kernarg_segment_ptr 1
		.amdhsa_user_sgpr_dispatch_id 0
		.amdhsa_user_sgpr_flat_scratch_init 0
		.amdhsa_user_sgpr_private_segment_size 0
		.amdhsa_uses_dynamic_stack 0
		.amdhsa_system_sgpr_private_segment_wavefront_offset 1
		.amdhsa_system_sgpr_workgroup_id_x 1
		.amdhsa_system_sgpr_workgroup_id_y 0
		.amdhsa_system_sgpr_workgroup_id_z 0
		.amdhsa_system_sgpr_workgroup_info 0
		.amdhsa_system_vgpr_workitem_id 0
		.amdhsa_next_free_vgpr 38
		.amdhsa_next_free_sgpr 34
		.amdhsa_reserve_vcc 1
		.amdhsa_reserve_flat_scratch 0
		.amdhsa_float_round_mode_32 0
		.amdhsa_float_round_mode_16_64 0
		.amdhsa_float_denorm_mode_32 3
		.amdhsa_float_denorm_mode_16_64 3
		.amdhsa_dx10_clamp 1
		.amdhsa_ieee_mode 1
		.amdhsa_fp16_overflow 0
		.amdhsa_exception_fp_ieee_invalid_op 0
		.amdhsa_exception_fp_denorm_src 0
		.amdhsa_exception_fp_ieee_div_zero 0
		.amdhsa_exception_fp_ieee_overflow 0
		.amdhsa_exception_fp_ieee_underflow 0
		.amdhsa_exception_fp_ieee_inexact 0
		.amdhsa_exception_int_div_zero 0
	.end_amdhsa_kernel
	.section	.text._ZL9mul_mat_fI7__half2Li64ELi3ELi1ELb1EEvPKT_PKfPKiPfiiiiiiiiiiiiiiii,"axG",@progbits,_ZL9mul_mat_fI7__half2Li64ELi3ELi1ELb1EEvPKT_PKfPKiPfiiiiiiiiiiiiiiii,comdat
.Lfunc_end100:
	.size	_ZL9mul_mat_fI7__half2Li64ELi3ELi1ELb1EEvPKT_PKfPKiPfiiiiiiiiiiiiiiii, .Lfunc_end100-_ZL9mul_mat_fI7__half2Li64ELi3ELi1ELb1EEvPKT_PKfPKiPfiiiiiiiiiiiiiiii
                                        ; -- End function
	.set _ZL9mul_mat_fI7__half2Li64ELi3ELi1ELb1EEvPKT_PKfPKiPfiiiiiiiiiiiiiiii.num_vgpr, max(3, .L_ZL14no_device_codePKciS0_iS0_.num_vgpr)
	.set _ZL9mul_mat_fI7__half2Li64ELi3ELi1ELb1EEvPKT_PKfPKiPfiiiiiiiiiiiiiiii.num_agpr, max(0, .L_ZL14no_device_codePKciS0_iS0_.num_agpr)
	.set _ZL9mul_mat_fI7__half2Li64ELi3ELi1ELb1EEvPKT_PKfPKiPfiiiiiiiiiiiiiiii.numbered_sgpr, max(33, .L_ZL14no_device_codePKciS0_iS0_.numbered_sgpr)
	.set _ZL9mul_mat_fI7__half2Li64ELi3ELi1ELb1EEvPKT_PKfPKiPfiiiiiiiiiiiiiiii.num_named_barrier, max(0, .L_ZL14no_device_codePKciS0_iS0_.num_named_barrier)
	.set _ZL9mul_mat_fI7__half2Li64ELi3ELi1ELb1EEvPKT_PKfPKiPfiiiiiiiiiiiiiiii.private_seg_size, 0+max(.L_ZL14no_device_codePKciS0_iS0_.private_seg_size)
	.set _ZL9mul_mat_fI7__half2Li64ELi3ELi1ELb1EEvPKT_PKfPKiPfiiiiiiiiiiiiiiii.uses_vcc, or(1, .L_ZL14no_device_codePKciS0_iS0_.uses_vcc)
	.set _ZL9mul_mat_fI7__half2Li64ELi3ELi1ELb1EEvPKT_PKfPKiPfiiiiiiiiiiiiiiii.uses_flat_scratch, or(0, .L_ZL14no_device_codePKciS0_iS0_.uses_flat_scratch)
	.set _ZL9mul_mat_fI7__half2Li64ELi3ELi1ELb1EEvPKT_PKfPKiPfiiiiiiiiiiiiiiii.has_dyn_sized_stack, or(0, .L_ZL14no_device_codePKciS0_iS0_.has_dyn_sized_stack)
	.set _ZL9mul_mat_fI7__half2Li64ELi3ELi1ELb1EEvPKT_PKfPKiPfiiiiiiiiiiiiiiii.has_recursion, or(0, .L_ZL14no_device_codePKciS0_iS0_.has_recursion)
	.set _ZL9mul_mat_fI7__half2Li64ELi3ELi1ELb1EEvPKT_PKfPKiPfiiiiiiiiiiiiiiii.has_indirect_call, or(0, .L_ZL14no_device_codePKciS0_iS0_.has_indirect_call)
	.section	.AMDGPU.csdata,"",@progbits
; Kernel info:
; codeLenInByte = 84
; TotalNumSgprs: 38
; NumVgprs: 38
; ScratchSize: 16
; MemoryBound: 0
; FloatMode: 240
; IeeeMode: 1
; LDSByteSize: 0 bytes/workgroup (compile time only)
; SGPRBlocks: 4
; VGPRBlocks: 9
; NumSGPRsForWavesPerEU: 38
; NumVGPRsForWavesPerEU: 38
; Occupancy: 6
; WaveLimiterHint : 1
; COMPUTE_PGM_RSRC2:SCRATCH_EN: 1
; COMPUTE_PGM_RSRC2:USER_SGPR: 6
; COMPUTE_PGM_RSRC2:TRAP_HANDLER: 0
; COMPUTE_PGM_RSRC2:TGID_X_EN: 1
; COMPUTE_PGM_RSRC2:TGID_Y_EN: 0
; COMPUTE_PGM_RSRC2:TGID_Z_EN: 0
; COMPUTE_PGM_RSRC2:TIDIG_COMP_CNT: 0
	.section	.text._ZL9mul_mat_fI7__half2Li64ELi3ELi1ELb0EEvPKT_PKfPKiPfiiiiiiiiiiiiiiii,"axG",@progbits,_ZL9mul_mat_fI7__half2Li64ELi3ELi1ELb0EEvPKT_PKfPKiPfiiiiiiiiiiiiiiii,comdat
	.globl	_ZL9mul_mat_fI7__half2Li64ELi3ELi1ELb0EEvPKT_PKfPKiPfiiiiiiiiiiiiiiii ; -- Begin function _ZL9mul_mat_fI7__half2Li64ELi3ELi1ELb0EEvPKT_PKfPKiPfiiiiiiiiiiiiiiii
	.p2align	8
	.type	_ZL9mul_mat_fI7__half2Li64ELi3ELi1ELb0EEvPKT_PKfPKiPfiiiiiiiiiiiiiiii,@function
_ZL9mul_mat_fI7__half2Li64ELi3ELi1ELb0EEvPKT_PKfPKiPfiiiiiiiiiiiiiiii: ; @_ZL9mul_mat_fI7__half2Li64ELi3ELi1ELb0EEvPKT_PKfPKiPfiiiiiiiiiiiiiiii
; %bb.0:
	s_add_u32 s0, s0, s7
	s_addc_u32 s1, s1, 0
	s_add_u32 s8, s4, 0x60
	s_addc_u32 s9, s5, 0
	s_getpc_b64 s[4:5]
	s_add_u32 s4, s4, __FUNCTION__._ZL9mul_mat_fIfLi32ELi3ELi1ELb1EEvPKT_PKfPKiPfiiiiiiiiiiiiiiii@rel32@lo+4
	s_addc_u32 s5, s5, __FUNCTION__._ZL9mul_mat_fIfLi32ELi3ELi1ELb1EEvPKT_PKfPKiPfiiiiiiiiiiiiiiii@rel32@hi+12
	s_getpc_b64 s[6:7]
	s_add_u32 s6, s6, _ZL14no_device_codePKciS0_iS0_@rel32@lo+4
	s_addc_u32 s7, s7, _ZL14no_device_codePKciS0_iS0_@rel32@hi+12
	v_mov_b32_e32 v0, 0x124
	v_mov_b32_e32 v1, s4
	;; [unrolled: 1-line block ×3, first 2 shown]
	s_mov_b32 s32, 0
	s_swappc_b64 s[30:31], s[6:7]
	.section	.rodata,"a",@progbits
	.p2align	6, 0x0
	.amdhsa_kernel _ZL9mul_mat_fI7__half2Li64ELi3ELi1ELb0EEvPKT_PKfPKiPfiiiiiiiiiiiiiiii
		.amdhsa_group_segment_fixed_size 0
		.amdhsa_private_segment_fixed_size 16
		.amdhsa_kernarg_size 352
		.amdhsa_user_sgpr_count 6
		.amdhsa_user_sgpr_private_segment_buffer 1
		.amdhsa_user_sgpr_dispatch_ptr 0
		.amdhsa_user_sgpr_queue_ptr 0
		.amdhsa_user_sgpr_kernarg_segment_ptr 1
		.amdhsa_user_sgpr_dispatch_id 0
		.amdhsa_user_sgpr_flat_scratch_init 0
		.amdhsa_user_sgpr_private_segment_size 0
		.amdhsa_uses_dynamic_stack 0
		.amdhsa_system_sgpr_private_segment_wavefront_offset 1
		.amdhsa_system_sgpr_workgroup_id_x 1
		.amdhsa_system_sgpr_workgroup_id_y 0
		.amdhsa_system_sgpr_workgroup_id_z 0
		.amdhsa_system_sgpr_workgroup_info 0
		.amdhsa_system_vgpr_workitem_id 0
		.amdhsa_next_free_vgpr 38
		.amdhsa_next_free_sgpr 34
		.amdhsa_reserve_vcc 1
		.amdhsa_reserve_flat_scratch 0
		.amdhsa_float_round_mode_32 0
		.amdhsa_float_round_mode_16_64 0
		.amdhsa_float_denorm_mode_32 3
		.amdhsa_float_denorm_mode_16_64 3
		.amdhsa_dx10_clamp 1
		.amdhsa_ieee_mode 1
		.amdhsa_fp16_overflow 0
		.amdhsa_exception_fp_ieee_invalid_op 0
		.amdhsa_exception_fp_denorm_src 0
		.amdhsa_exception_fp_ieee_div_zero 0
		.amdhsa_exception_fp_ieee_overflow 0
		.amdhsa_exception_fp_ieee_underflow 0
		.amdhsa_exception_fp_ieee_inexact 0
		.amdhsa_exception_int_div_zero 0
	.end_amdhsa_kernel
	.section	.text._ZL9mul_mat_fI7__half2Li64ELi3ELi1ELb0EEvPKT_PKfPKiPfiiiiiiiiiiiiiiii,"axG",@progbits,_ZL9mul_mat_fI7__half2Li64ELi3ELi1ELb0EEvPKT_PKfPKiPfiiiiiiiiiiiiiiii,comdat
.Lfunc_end101:
	.size	_ZL9mul_mat_fI7__half2Li64ELi3ELi1ELb0EEvPKT_PKfPKiPfiiiiiiiiiiiiiiii, .Lfunc_end101-_ZL9mul_mat_fI7__half2Li64ELi3ELi1ELb0EEvPKT_PKfPKiPfiiiiiiiiiiiiiiii
                                        ; -- End function
	.set _ZL9mul_mat_fI7__half2Li64ELi3ELi1ELb0EEvPKT_PKfPKiPfiiiiiiiiiiiiiiii.num_vgpr, max(3, .L_ZL14no_device_codePKciS0_iS0_.num_vgpr)
	.set _ZL9mul_mat_fI7__half2Li64ELi3ELi1ELb0EEvPKT_PKfPKiPfiiiiiiiiiiiiiiii.num_agpr, max(0, .L_ZL14no_device_codePKciS0_iS0_.num_agpr)
	.set _ZL9mul_mat_fI7__half2Li64ELi3ELi1ELb0EEvPKT_PKfPKiPfiiiiiiiiiiiiiiii.numbered_sgpr, max(33, .L_ZL14no_device_codePKciS0_iS0_.numbered_sgpr)
	.set _ZL9mul_mat_fI7__half2Li64ELi3ELi1ELb0EEvPKT_PKfPKiPfiiiiiiiiiiiiiiii.num_named_barrier, max(0, .L_ZL14no_device_codePKciS0_iS0_.num_named_barrier)
	.set _ZL9mul_mat_fI7__half2Li64ELi3ELi1ELb0EEvPKT_PKfPKiPfiiiiiiiiiiiiiiii.private_seg_size, 0+max(.L_ZL14no_device_codePKciS0_iS0_.private_seg_size)
	.set _ZL9mul_mat_fI7__half2Li64ELi3ELi1ELb0EEvPKT_PKfPKiPfiiiiiiiiiiiiiiii.uses_vcc, or(1, .L_ZL14no_device_codePKciS0_iS0_.uses_vcc)
	.set _ZL9mul_mat_fI7__half2Li64ELi3ELi1ELb0EEvPKT_PKfPKiPfiiiiiiiiiiiiiiii.uses_flat_scratch, or(0, .L_ZL14no_device_codePKciS0_iS0_.uses_flat_scratch)
	.set _ZL9mul_mat_fI7__half2Li64ELi3ELi1ELb0EEvPKT_PKfPKiPfiiiiiiiiiiiiiiii.has_dyn_sized_stack, or(0, .L_ZL14no_device_codePKciS0_iS0_.has_dyn_sized_stack)
	.set _ZL9mul_mat_fI7__half2Li64ELi3ELi1ELb0EEvPKT_PKfPKiPfiiiiiiiiiiiiiiii.has_recursion, or(0, .L_ZL14no_device_codePKciS0_iS0_.has_recursion)
	.set _ZL9mul_mat_fI7__half2Li64ELi3ELi1ELb0EEvPKT_PKfPKiPfiiiiiiiiiiiiiiii.has_indirect_call, or(0, .L_ZL14no_device_codePKciS0_iS0_.has_indirect_call)
	.section	.AMDGPU.csdata,"",@progbits
; Kernel info:
; codeLenInByte = 84
; TotalNumSgprs: 38
; NumVgprs: 38
; ScratchSize: 16
; MemoryBound: 0
; FloatMode: 240
; IeeeMode: 1
; LDSByteSize: 0 bytes/workgroup (compile time only)
; SGPRBlocks: 4
; VGPRBlocks: 9
; NumSGPRsForWavesPerEU: 38
; NumVGPRsForWavesPerEU: 38
; Occupancy: 6
; WaveLimiterHint : 1
; COMPUTE_PGM_RSRC2:SCRATCH_EN: 1
; COMPUTE_PGM_RSRC2:USER_SGPR: 6
; COMPUTE_PGM_RSRC2:TRAP_HANDLER: 0
; COMPUTE_PGM_RSRC2:TGID_X_EN: 1
; COMPUTE_PGM_RSRC2:TGID_Y_EN: 0
; COMPUTE_PGM_RSRC2:TGID_Z_EN: 0
; COMPUTE_PGM_RSRC2:TIDIG_COMP_CNT: 0
	.section	.text._ZL13mul_mat_f_idsI7__half2Li64ELi3ELi2EEvPKT_PKfPKiS7_S7_Pfiiiiiiiiiiiiii15HIP_vector_typeIjLj3EESA_,"axG",@progbits,_ZL13mul_mat_f_idsI7__half2Li64ELi3ELi2EEvPKT_PKfPKiS7_S7_Pfiiiiiiiiiiiiii15HIP_vector_typeIjLj3EESA_,comdat
	.globl	_ZL13mul_mat_f_idsI7__half2Li64ELi3ELi2EEvPKT_PKfPKiS7_S7_Pfiiiiiiiiiiiiii15HIP_vector_typeIjLj3EESA_ ; -- Begin function _ZL13mul_mat_f_idsI7__half2Li64ELi3ELi2EEvPKT_PKfPKiS7_S7_Pfiiiiiiiiiiiiii15HIP_vector_typeIjLj3EESA_
	.p2align	8
	.type	_ZL13mul_mat_f_idsI7__half2Li64ELi3ELi2EEvPKT_PKfPKiS7_S7_Pfiiiiiiiiiiiiii15HIP_vector_typeIjLj3EESA_,@function
_ZL13mul_mat_f_idsI7__half2Li64ELi3ELi2EEvPKT_PKfPKiS7_S7_Pfiiiiiiiiiiiiii15HIP_vector_typeIjLj3EESA_: ; @_ZL13mul_mat_f_idsI7__half2Li64ELi3ELi2EEvPKT_PKfPKiS7_S7_Pfiiiiiiiiiiiiii15HIP_vector_typeIjLj3EESA_
; %bb.0:
	s_add_u32 s0, s0, s7
	s_addc_u32 s1, s1, 0
	s_add_u32 s8, s4, 0x80
	s_addc_u32 s9, s5, 0
	s_getpc_b64 s[4:5]
	s_add_u32 s4, s4, __FUNCTION__._ZL13mul_mat_f_idsIfLi32ELi3ELi1EEvPKT_PKfPKiS6_S6_Pfiiiiiiiiiiiiii15HIP_vector_typeIjLj3EES9_@rel32@lo+4
	s_addc_u32 s5, s5, __FUNCTION__._ZL13mul_mat_f_idsIfLi32ELi3ELi1EEvPKT_PKfPKiS6_S6_Pfiiiiiiiiiiiiii15HIP_vector_typeIjLj3EES9_@rel32@hi+12
	s_getpc_b64 s[6:7]
	s_add_u32 s6, s6, _ZL14no_device_codePKciS0_iS0_@rel32@lo+4
	s_addc_u32 s7, s7, _ZL14no_device_codePKciS0_iS0_@rel32@hi+12
	v_mov_b32_e32 v0, 0x238
	v_mov_b32_e32 v1, s4
	;; [unrolled: 1-line block ×3, first 2 shown]
	s_mov_b32 s32, 0
	s_swappc_b64 s[30:31], s[6:7]
	.section	.rodata,"a",@progbits
	.p2align	6, 0x0
	.amdhsa_kernel _ZL13mul_mat_f_idsI7__half2Li64ELi3ELi2EEvPKT_PKfPKiS7_S7_Pfiiiiiiiiiiiiii15HIP_vector_typeIjLj3EESA_
		.amdhsa_group_segment_fixed_size 0
		.amdhsa_private_segment_fixed_size 16
		.amdhsa_kernarg_size 384
		.amdhsa_user_sgpr_count 6
		.amdhsa_user_sgpr_private_segment_buffer 1
		.amdhsa_user_sgpr_dispatch_ptr 0
		.amdhsa_user_sgpr_queue_ptr 0
		.amdhsa_user_sgpr_kernarg_segment_ptr 1
		.amdhsa_user_sgpr_dispatch_id 0
		.amdhsa_user_sgpr_flat_scratch_init 0
		.amdhsa_user_sgpr_private_segment_size 0
		.amdhsa_uses_dynamic_stack 0
		.amdhsa_system_sgpr_private_segment_wavefront_offset 1
		.amdhsa_system_sgpr_workgroup_id_x 1
		.amdhsa_system_sgpr_workgroup_id_y 0
		.amdhsa_system_sgpr_workgroup_id_z 0
		.amdhsa_system_sgpr_workgroup_info 0
		.amdhsa_system_vgpr_workitem_id 0
		.amdhsa_next_free_vgpr 38
		.amdhsa_next_free_sgpr 34
		.amdhsa_reserve_vcc 1
		.amdhsa_reserve_flat_scratch 0
		.amdhsa_float_round_mode_32 0
		.amdhsa_float_round_mode_16_64 0
		.amdhsa_float_denorm_mode_32 3
		.amdhsa_float_denorm_mode_16_64 3
		.amdhsa_dx10_clamp 1
		.amdhsa_ieee_mode 1
		.amdhsa_fp16_overflow 0
		.amdhsa_exception_fp_ieee_invalid_op 0
		.amdhsa_exception_fp_denorm_src 0
		.amdhsa_exception_fp_ieee_div_zero 0
		.amdhsa_exception_fp_ieee_overflow 0
		.amdhsa_exception_fp_ieee_underflow 0
		.amdhsa_exception_fp_ieee_inexact 0
		.amdhsa_exception_int_div_zero 0
	.end_amdhsa_kernel
	.section	.text._ZL13mul_mat_f_idsI7__half2Li64ELi3ELi2EEvPKT_PKfPKiS7_S7_Pfiiiiiiiiiiiiii15HIP_vector_typeIjLj3EESA_,"axG",@progbits,_ZL13mul_mat_f_idsI7__half2Li64ELi3ELi2EEvPKT_PKfPKiS7_S7_Pfiiiiiiiiiiiiii15HIP_vector_typeIjLj3EESA_,comdat
.Lfunc_end102:
	.size	_ZL13mul_mat_f_idsI7__half2Li64ELi3ELi2EEvPKT_PKfPKiS7_S7_Pfiiiiiiiiiiiiii15HIP_vector_typeIjLj3EESA_, .Lfunc_end102-_ZL13mul_mat_f_idsI7__half2Li64ELi3ELi2EEvPKT_PKfPKiS7_S7_Pfiiiiiiiiiiiiii15HIP_vector_typeIjLj3EESA_
                                        ; -- End function
	.set _ZL13mul_mat_f_idsI7__half2Li64ELi3ELi2EEvPKT_PKfPKiS7_S7_Pfiiiiiiiiiiiiii15HIP_vector_typeIjLj3EESA_.num_vgpr, max(3, .L_ZL14no_device_codePKciS0_iS0_.num_vgpr)
	.set _ZL13mul_mat_f_idsI7__half2Li64ELi3ELi2EEvPKT_PKfPKiS7_S7_Pfiiiiiiiiiiiiii15HIP_vector_typeIjLj3EESA_.num_agpr, max(0, .L_ZL14no_device_codePKciS0_iS0_.num_agpr)
	.set _ZL13mul_mat_f_idsI7__half2Li64ELi3ELi2EEvPKT_PKfPKiS7_S7_Pfiiiiiiiiiiiiii15HIP_vector_typeIjLj3EESA_.numbered_sgpr, max(33, .L_ZL14no_device_codePKciS0_iS0_.numbered_sgpr)
	.set _ZL13mul_mat_f_idsI7__half2Li64ELi3ELi2EEvPKT_PKfPKiS7_S7_Pfiiiiiiiiiiiiii15HIP_vector_typeIjLj3EESA_.num_named_barrier, max(0, .L_ZL14no_device_codePKciS0_iS0_.num_named_barrier)
	.set _ZL13mul_mat_f_idsI7__half2Li64ELi3ELi2EEvPKT_PKfPKiS7_S7_Pfiiiiiiiiiiiiii15HIP_vector_typeIjLj3EESA_.private_seg_size, 0+max(.L_ZL14no_device_codePKciS0_iS0_.private_seg_size)
	.set _ZL13mul_mat_f_idsI7__half2Li64ELi3ELi2EEvPKT_PKfPKiS7_S7_Pfiiiiiiiiiiiiii15HIP_vector_typeIjLj3EESA_.uses_vcc, or(1, .L_ZL14no_device_codePKciS0_iS0_.uses_vcc)
	.set _ZL13mul_mat_f_idsI7__half2Li64ELi3ELi2EEvPKT_PKfPKiS7_S7_Pfiiiiiiiiiiiiii15HIP_vector_typeIjLj3EESA_.uses_flat_scratch, or(0, .L_ZL14no_device_codePKciS0_iS0_.uses_flat_scratch)
	.set _ZL13mul_mat_f_idsI7__half2Li64ELi3ELi2EEvPKT_PKfPKiS7_S7_Pfiiiiiiiiiiiiii15HIP_vector_typeIjLj3EESA_.has_dyn_sized_stack, or(0, .L_ZL14no_device_codePKciS0_iS0_.has_dyn_sized_stack)
	.set _ZL13mul_mat_f_idsI7__half2Li64ELi3ELi2EEvPKT_PKfPKiS7_S7_Pfiiiiiiiiiiiiii15HIP_vector_typeIjLj3EESA_.has_recursion, or(0, .L_ZL14no_device_codePKciS0_iS0_.has_recursion)
	.set _ZL13mul_mat_f_idsI7__half2Li64ELi3ELi2EEvPKT_PKfPKiS7_S7_Pfiiiiiiiiiiiiii15HIP_vector_typeIjLj3EESA_.has_indirect_call, or(0, .L_ZL14no_device_codePKciS0_iS0_.has_indirect_call)
	.section	.AMDGPU.csdata,"",@progbits
; Kernel info:
; codeLenInByte = 84
; TotalNumSgprs: 38
; NumVgprs: 38
; ScratchSize: 16
; MemoryBound: 0
; FloatMode: 240
; IeeeMode: 1
; LDSByteSize: 0 bytes/workgroup (compile time only)
; SGPRBlocks: 4
; VGPRBlocks: 9
; NumSGPRsForWavesPerEU: 38
; NumVGPRsForWavesPerEU: 38
; Occupancy: 6
; WaveLimiterHint : 1
; COMPUTE_PGM_RSRC2:SCRATCH_EN: 1
; COMPUTE_PGM_RSRC2:USER_SGPR: 6
; COMPUTE_PGM_RSRC2:TRAP_HANDLER: 0
; COMPUTE_PGM_RSRC2:TGID_X_EN: 1
; COMPUTE_PGM_RSRC2:TGID_Y_EN: 0
; COMPUTE_PGM_RSRC2:TGID_Z_EN: 0
; COMPUTE_PGM_RSRC2:TIDIG_COMP_CNT: 0
	.section	.text._ZL9mul_mat_fI7__half2Li64ELi3ELi2ELb1EEvPKT_PKfPKiPfiiiiiiiiiiiiiiii,"axG",@progbits,_ZL9mul_mat_fI7__half2Li64ELi3ELi2ELb1EEvPKT_PKfPKiPfiiiiiiiiiiiiiiii,comdat
	.globl	_ZL9mul_mat_fI7__half2Li64ELi3ELi2ELb1EEvPKT_PKfPKiPfiiiiiiiiiiiiiiii ; -- Begin function _ZL9mul_mat_fI7__half2Li64ELi3ELi2ELb1EEvPKT_PKfPKiPfiiiiiiiiiiiiiiii
	.p2align	8
	.type	_ZL9mul_mat_fI7__half2Li64ELi3ELi2ELb1EEvPKT_PKfPKiPfiiiiiiiiiiiiiiii,@function
_ZL9mul_mat_fI7__half2Li64ELi3ELi2ELb1EEvPKT_PKfPKiPfiiiiiiiiiiiiiiii: ; @_ZL9mul_mat_fI7__half2Li64ELi3ELi2ELb1EEvPKT_PKfPKiPfiiiiiiiiiiiiiiii
; %bb.0:
	s_add_u32 s0, s0, s7
	s_addc_u32 s1, s1, 0
	s_add_u32 s8, s4, 0x60
	s_addc_u32 s9, s5, 0
	s_getpc_b64 s[4:5]
	s_add_u32 s4, s4, __FUNCTION__._ZL9mul_mat_fIfLi32ELi3ELi1ELb1EEvPKT_PKfPKiPfiiiiiiiiiiiiiiii@rel32@lo+4
	s_addc_u32 s5, s5, __FUNCTION__._ZL9mul_mat_fIfLi32ELi3ELi1ELb1EEvPKT_PKfPKiPfiiiiiiiiiiiiiiii@rel32@hi+12
	s_getpc_b64 s[6:7]
	s_add_u32 s6, s6, _ZL14no_device_codePKciS0_iS0_@rel32@lo+4
	s_addc_u32 s7, s7, _ZL14no_device_codePKciS0_iS0_@rel32@hi+12
	v_mov_b32_e32 v0, 0x124
	v_mov_b32_e32 v1, s4
	;; [unrolled: 1-line block ×3, first 2 shown]
	s_mov_b32 s32, 0
	s_swappc_b64 s[30:31], s[6:7]
	.section	.rodata,"a",@progbits
	.p2align	6, 0x0
	.amdhsa_kernel _ZL9mul_mat_fI7__half2Li64ELi3ELi2ELb1EEvPKT_PKfPKiPfiiiiiiiiiiiiiiii
		.amdhsa_group_segment_fixed_size 0
		.amdhsa_private_segment_fixed_size 16
		.amdhsa_kernarg_size 352
		.amdhsa_user_sgpr_count 6
		.amdhsa_user_sgpr_private_segment_buffer 1
		.amdhsa_user_sgpr_dispatch_ptr 0
		.amdhsa_user_sgpr_queue_ptr 0
		.amdhsa_user_sgpr_kernarg_segment_ptr 1
		.amdhsa_user_sgpr_dispatch_id 0
		.amdhsa_user_sgpr_flat_scratch_init 0
		.amdhsa_user_sgpr_private_segment_size 0
		.amdhsa_uses_dynamic_stack 0
		.amdhsa_system_sgpr_private_segment_wavefront_offset 1
		.amdhsa_system_sgpr_workgroup_id_x 1
		.amdhsa_system_sgpr_workgroup_id_y 0
		.amdhsa_system_sgpr_workgroup_id_z 0
		.amdhsa_system_sgpr_workgroup_info 0
		.amdhsa_system_vgpr_workitem_id 0
		.amdhsa_next_free_vgpr 38
		.amdhsa_next_free_sgpr 34
		.amdhsa_reserve_vcc 1
		.amdhsa_reserve_flat_scratch 0
		.amdhsa_float_round_mode_32 0
		.amdhsa_float_round_mode_16_64 0
		.amdhsa_float_denorm_mode_32 3
		.amdhsa_float_denorm_mode_16_64 3
		.amdhsa_dx10_clamp 1
		.amdhsa_ieee_mode 1
		.amdhsa_fp16_overflow 0
		.amdhsa_exception_fp_ieee_invalid_op 0
		.amdhsa_exception_fp_denorm_src 0
		.amdhsa_exception_fp_ieee_div_zero 0
		.amdhsa_exception_fp_ieee_overflow 0
		.amdhsa_exception_fp_ieee_underflow 0
		.amdhsa_exception_fp_ieee_inexact 0
		.amdhsa_exception_int_div_zero 0
	.end_amdhsa_kernel
	.section	.text._ZL9mul_mat_fI7__half2Li64ELi3ELi2ELb1EEvPKT_PKfPKiPfiiiiiiiiiiiiiiii,"axG",@progbits,_ZL9mul_mat_fI7__half2Li64ELi3ELi2ELb1EEvPKT_PKfPKiPfiiiiiiiiiiiiiiii,comdat
.Lfunc_end103:
	.size	_ZL9mul_mat_fI7__half2Li64ELi3ELi2ELb1EEvPKT_PKfPKiPfiiiiiiiiiiiiiiii, .Lfunc_end103-_ZL9mul_mat_fI7__half2Li64ELi3ELi2ELb1EEvPKT_PKfPKiPfiiiiiiiiiiiiiiii
                                        ; -- End function
	.set _ZL9mul_mat_fI7__half2Li64ELi3ELi2ELb1EEvPKT_PKfPKiPfiiiiiiiiiiiiiiii.num_vgpr, max(3, .L_ZL14no_device_codePKciS0_iS0_.num_vgpr)
	.set _ZL9mul_mat_fI7__half2Li64ELi3ELi2ELb1EEvPKT_PKfPKiPfiiiiiiiiiiiiiiii.num_agpr, max(0, .L_ZL14no_device_codePKciS0_iS0_.num_agpr)
	.set _ZL9mul_mat_fI7__half2Li64ELi3ELi2ELb1EEvPKT_PKfPKiPfiiiiiiiiiiiiiiii.numbered_sgpr, max(33, .L_ZL14no_device_codePKciS0_iS0_.numbered_sgpr)
	.set _ZL9mul_mat_fI7__half2Li64ELi3ELi2ELb1EEvPKT_PKfPKiPfiiiiiiiiiiiiiiii.num_named_barrier, max(0, .L_ZL14no_device_codePKciS0_iS0_.num_named_barrier)
	.set _ZL9mul_mat_fI7__half2Li64ELi3ELi2ELb1EEvPKT_PKfPKiPfiiiiiiiiiiiiiiii.private_seg_size, 0+max(.L_ZL14no_device_codePKciS0_iS0_.private_seg_size)
	.set _ZL9mul_mat_fI7__half2Li64ELi3ELi2ELb1EEvPKT_PKfPKiPfiiiiiiiiiiiiiiii.uses_vcc, or(1, .L_ZL14no_device_codePKciS0_iS0_.uses_vcc)
	.set _ZL9mul_mat_fI7__half2Li64ELi3ELi2ELb1EEvPKT_PKfPKiPfiiiiiiiiiiiiiiii.uses_flat_scratch, or(0, .L_ZL14no_device_codePKciS0_iS0_.uses_flat_scratch)
	.set _ZL9mul_mat_fI7__half2Li64ELi3ELi2ELb1EEvPKT_PKfPKiPfiiiiiiiiiiiiiiii.has_dyn_sized_stack, or(0, .L_ZL14no_device_codePKciS0_iS0_.has_dyn_sized_stack)
	.set _ZL9mul_mat_fI7__half2Li64ELi3ELi2ELb1EEvPKT_PKfPKiPfiiiiiiiiiiiiiiii.has_recursion, or(0, .L_ZL14no_device_codePKciS0_iS0_.has_recursion)
	.set _ZL9mul_mat_fI7__half2Li64ELi3ELi2ELb1EEvPKT_PKfPKiPfiiiiiiiiiiiiiiii.has_indirect_call, or(0, .L_ZL14no_device_codePKciS0_iS0_.has_indirect_call)
	.section	.AMDGPU.csdata,"",@progbits
; Kernel info:
; codeLenInByte = 84
; TotalNumSgprs: 38
; NumVgprs: 38
; ScratchSize: 16
; MemoryBound: 0
; FloatMode: 240
; IeeeMode: 1
; LDSByteSize: 0 bytes/workgroup (compile time only)
; SGPRBlocks: 4
; VGPRBlocks: 9
; NumSGPRsForWavesPerEU: 38
; NumVGPRsForWavesPerEU: 38
; Occupancy: 6
; WaveLimiterHint : 1
; COMPUTE_PGM_RSRC2:SCRATCH_EN: 1
; COMPUTE_PGM_RSRC2:USER_SGPR: 6
; COMPUTE_PGM_RSRC2:TRAP_HANDLER: 0
; COMPUTE_PGM_RSRC2:TGID_X_EN: 1
; COMPUTE_PGM_RSRC2:TGID_Y_EN: 0
; COMPUTE_PGM_RSRC2:TGID_Z_EN: 0
; COMPUTE_PGM_RSRC2:TIDIG_COMP_CNT: 0
	.section	.text._ZL9mul_mat_fI7__half2Li64ELi3ELi2ELb0EEvPKT_PKfPKiPfiiiiiiiiiiiiiiii,"axG",@progbits,_ZL9mul_mat_fI7__half2Li64ELi3ELi2ELb0EEvPKT_PKfPKiPfiiiiiiiiiiiiiiii,comdat
	.globl	_ZL9mul_mat_fI7__half2Li64ELi3ELi2ELb0EEvPKT_PKfPKiPfiiiiiiiiiiiiiiii ; -- Begin function _ZL9mul_mat_fI7__half2Li64ELi3ELi2ELb0EEvPKT_PKfPKiPfiiiiiiiiiiiiiiii
	.p2align	8
	.type	_ZL9mul_mat_fI7__half2Li64ELi3ELi2ELb0EEvPKT_PKfPKiPfiiiiiiiiiiiiiiii,@function
_ZL9mul_mat_fI7__half2Li64ELi3ELi2ELb0EEvPKT_PKfPKiPfiiiiiiiiiiiiiiii: ; @_ZL9mul_mat_fI7__half2Li64ELi3ELi2ELb0EEvPKT_PKfPKiPfiiiiiiiiiiiiiiii
; %bb.0:
	s_add_u32 s0, s0, s7
	s_addc_u32 s1, s1, 0
	s_add_u32 s8, s4, 0x60
	s_addc_u32 s9, s5, 0
	s_getpc_b64 s[4:5]
	s_add_u32 s4, s4, __FUNCTION__._ZL9mul_mat_fIfLi32ELi3ELi1ELb1EEvPKT_PKfPKiPfiiiiiiiiiiiiiiii@rel32@lo+4
	s_addc_u32 s5, s5, __FUNCTION__._ZL9mul_mat_fIfLi32ELi3ELi1ELb1EEvPKT_PKfPKiPfiiiiiiiiiiiiiiii@rel32@hi+12
	s_getpc_b64 s[6:7]
	s_add_u32 s6, s6, _ZL14no_device_codePKciS0_iS0_@rel32@lo+4
	s_addc_u32 s7, s7, _ZL14no_device_codePKciS0_iS0_@rel32@hi+12
	v_mov_b32_e32 v0, 0x124
	v_mov_b32_e32 v1, s4
	;; [unrolled: 1-line block ×3, first 2 shown]
	s_mov_b32 s32, 0
	s_swappc_b64 s[30:31], s[6:7]
	.section	.rodata,"a",@progbits
	.p2align	6, 0x0
	.amdhsa_kernel _ZL9mul_mat_fI7__half2Li64ELi3ELi2ELb0EEvPKT_PKfPKiPfiiiiiiiiiiiiiiii
		.amdhsa_group_segment_fixed_size 0
		.amdhsa_private_segment_fixed_size 16
		.amdhsa_kernarg_size 352
		.amdhsa_user_sgpr_count 6
		.amdhsa_user_sgpr_private_segment_buffer 1
		.amdhsa_user_sgpr_dispatch_ptr 0
		.amdhsa_user_sgpr_queue_ptr 0
		.amdhsa_user_sgpr_kernarg_segment_ptr 1
		.amdhsa_user_sgpr_dispatch_id 0
		.amdhsa_user_sgpr_flat_scratch_init 0
		.amdhsa_user_sgpr_private_segment_size 0
		.amdhsa_uses_dynamic_stack 0
		.amdhsa_system_sgpr_private_segment_wavefront_offset 1
		.amdhsa_system_sgpr_workgroup_id_x 1
		.amdhsa_system_sgpr_workgroup_id_y 0
		.amdhsa_system_sgpr_workgroup_id_z 0
		.amdhsa_system_sgpr_workgroup_info 0
		.amdhsa_system_vgpr_workitem_id 0
		.amdhsa_next_free_vgpr 38
		.amdhsa_next_free_sgpr 34
		.amdhsa_reserve_vcc 1
		.amdhsa_reserve_flat_scratch 0
		.amdhsa_float_round_mode_32 0
		.amdhsa_float_round_mode_16_64 0
		.amdhsa_float_denorm_mode_32 3
		.amdhsa_float_denorm_mode_16_64 3
		.amdhsa_dx10_clamp 1
		.amdhsa_ieee_mode 1
		.amdhsa_fp16_overflow 0
		.amdhsa_exception_fp_ieee_invalid_op 0
		.amdhsa_exception_fp_denorm_src 0
		.amdhsa_exception_fp_ieee_div_zero 0
		.amdhsa_exception_fp_ieee_overflow 0
		.amdhsa_exception_fp_ieee_underflow 0
		.amdhsa_exception_fp_ieee_inexact 0
		.amdhsa_exception_int_div_zero 0
	.end_amdhsa_kernel
	.section	.text._ZL9mul_mat_fI7__half2Li64ELi3ELi2ELb0EEvPKT_PKfPKiPfiiiiiiiiiiiiiiii,"axG",@progbits,_ZL9mul_mat_fI7__half2Li64ELi3ELi2ELb0EEvPKT_PKfPKiPfiiiiiiiiiiiiiiii,comdat
.Lfunc_end104:
	.size	_ZL9mul_mat_fI7__half2Li64ELi3ELi2ELb0EEvPKT_PKfPKiPfiiiiiiiiiiiiiiii, .Lfunc_end104-_ZL9mul_mat_fI7__half2Li64ELi3ELi2ELb0EEvPKT_PKfPKiPfiiiiiiiiiiiiiiii
                                        ; -- End function
	.set _ZL9mul_mat_fI7__half2Li64ELi3ELi2ELb0EEvPKT_PKfPKiPfiiiiiiiiiiiiiiii.num_vgpr, max(3, .L_ZL14no_device_codePKciS0_iS0_.num_vgpr)
	.set _ZL9mul_mat_fI7__half2Li64ELi3ELi2ELb0EEvPKT_PKfPKiPfiiiiiiiiiiiiiiii.num_agpr, max(0, .L_ZL14no_device_codePKciS0_iS0_.num_agpr)
	.set _ZL9mul_mat_fI7__half2Li64ELi3ELi2ELb0EEvPKT_PKfPKiPfiiiiiiiiiiiiiiii.numbered_sgpr, max(33, .L_ZL14no_device_codePKciS0_iS0_.numbered_sgpr)
	.set _ZL9mul_mat_fI7__half2Li64ELi3ELi2ELb0EEvPKT_PKfPKiPfiiiiiiiiiiiiiiii.num_named_barrier, max(0, .L_ZL14no_device_codePKciS0_iS0_.num_named_barrier)
	.set _ZL9mul_mat_fI7__half2Li64ELi3ELi2ELb0EEvPKT_PKfPKiPfiiiiiiiiiiiiiiii.private_seg_size, 0+max(.L_ZL14no_device_codePKciS0_iS0_.private_seg_size)
	.set _ZL9mul_mat_fI7__half2Li64ELi3ELi2ELb0EEvPKT_PKfPKiPfiiiiiiiiiiiiiiii.uses_vcc, or(1, .L_ZL14no_device_codePKciS0_iS0_.uses_vcc)
	.set _ZL9mul_mat_fI7__half2Li64ELi3ELi2ELb0EEvPKT_PKfPKiPfiiiiiiiiiiiiiiii.uses_flat_scratch, or(0, .L_ZL14no_device_codePKciS0_iS0_.uses_flat_scratch)
	.set _ZL9mul_mat_fI7__half2Li64ELi3ELi2ELb0EEvPKT_PKfPKiPfiiiiiiiiiiiiiiii.has_dyn_sized_stack, or(0, .L_ZL14no_device_codePKciS0_iS0_.has_dyn_sized_stack)
	.set _ZL9mul_mat_fI7__half2Li64ELi3ELi2ELb0EEvPKT_PKfPKiPfiiiiiiiiiiiiiiii.has_recursion, or(0, .L_ZL14no_device_codePKciS0_iS0_.has_recursion)
	.set _ZL9mul_mat_fI7__half2Li64ELi3ELi2ELb0EEvPKT_PKfPKiPfiiiiiiiiiiiiiiii.has_indirect_call, or(0, .L_ZL14no_device_codePKciS0_iS0_.has_indirect_call)
	.section	.AMDGPU.csdata,"",@progbits
; Kernel info:
; codeLenInByte = 84
; TotalNumSgprs: 38
; NumVgprs: 38
; ScratchSize: 16
; MemoryBound: 0
; FloatMode: 240
; IeeeMode: 1
; LDSByteSize: 0 bytes/workgroup (compile time only)
; SGPRBlocks: 4
; VGPRBlocks: 9
; NumSGPRsForWavesPerEU: 38
; NumVGPRsForWavesPerEU: 38
; Occupancy: 6
; WaveLimiterHint : 1
; COMPUTE_PGM_RSRC2:SCRATCH_EN: 1
; COMPUTE_PGM_RSRC2:USER_SGPR: 6
; COMPUTE_PGM_RSRC2:TRAP_HANDLER: 0
; COMPUTE_PGM_RSRC2:TGID_X_EN: 1
; COMPUTE_PGM_RSRC2:TGID_Y_EN: 0
; COMPUTE_PGM_RSRC2:TGID_Z_EN: 0
; COMPUTE_PGM_RSRC2:TIDIG_COMP_CNT: 0
	.section	.text._ZL13mul_mat_f_idsI7__half2Li64ELi3ELi3EEvPKT_PKfPKiS7_S7_Pfiiiiiiiiiiiiii15HIP_vector_typeIjLj3EESA_,"axG",@progbits,_ZL13mul_mat_f_idsI7__half2Li64ELi3ELi3EEvPKT_PKfPKiS7_S7_Pfiiiiiiiiiiiiii15HIP_vector_typeIjLj3EESA_,comdat
	.globl	_ZL13mul_mat_f_idsI7__half2Li64ELi3ELi3EEvPKT_PKfPKiS7_S7_Pfiiiiiiiiiiiiii15HIP_vector_typeIjLj3EESA_ ; -- Begin function _ZL13mul_mat_f_idsI7__half2Li64ELi3ELi3EEvPKT_PKfPKiS7_S7_Pfiiiiiiiiiiiiii15HIP_vector_typeIjLj3EESA_
	.p2align	8
	.type	_ZL13mul_mat_f_idsI7__half2Li64ELi3ELi3EEvPKT_PKfPKiS7_S7_Pfiiiiiiiiiiiiii15HIP_vector_typeIjLj3EESA_,@function
_ZL13mul_mat_f_idsI7__half2Li64ELi3ELi3EEvPKT_PKfPKiS7_S7_Pfiiiiiiiiiiiiii15HIP_vector_typeIjLj3EESA_: ; @_ZL13mul_mat_f_idsI7__half2Li64ELi3ELi3EEvPKT_PKfPKiS7_S7_Pfiiiiiiiiiiiiii15HIP_vector_typeIjLj3EESA_
; %bb.0:
	s_add_u32 s0, s0, s7
	s_addc_u32 s1, s1, 0
	s_add_u32 s8, s4, 0x80
	s_addc_u32 s9, s5, 0
	s_getpc_b64 s[4:5]
	s_add_u32 s4, s4, __FUNCTION__._ZL13mul_mat_f_idsIfLi32ELi3ELi1EEvPKT_PKfPKiS6_S6_Pfiiiiiiiiiiiiii15HIP_vector_typeIjLj3EES9_@rel32@lo+4
	s_addc_u32 s5, s5, __FUNCTION__._ZL13mul_mat_f_idsIfLi32ELi3ELi1EEvPKT_PKfPKiS6_S6_Pfiiiiiiiiiiiiii15HIP_vector_typeIjLj3EES9_@rel32@hi+12
	s_getpc_b64 s[6:7]
	s_add_u32 s6, s6, _ZL14no_device_codePKciS0_iS0_@rel32@lo+4
	s_addc_u32 s7, s7, _ZL14no_device_codePKciS0_iS0_@rel32@hi+12
	v_mov_b32_e32 v0, 0x238
	v_mov_b32_e32 v1, s4
	v_mov_b32_e32 v2, s5
	s_mov_b32 s32, 0
	s_swappc_b64 s[30:31], s[6:7]
	.section	.rodata,"a",@progbits
	.p2align	6, 0x0
	.amdhsa_kernel _ZL13mul_mat_f_idsI7__half2Li64ELi3ELi3EEvPKT_PKfPKiS7_S7_Pfiiiiiiiiiiiiii15HIP_vector_typeIjLj3EESA_
		.amdhsa_group_segment_fixed_size 0
		.amdhsa_private_segment_fixed_size 16
		.amdhsa_kernarg_size 384
		.amdhsa_user_sgpr_count 6
		.amdhsa_user_sgpr_private_segment_buffer 1
		.amdhsa_user_sgpr_dispatch_ptr 0
		.amdhsa_user_sgpr_queue_ptr 0
		.amdhsa_user_sgpr_kernarg_segment_ptr 1
		.amdhsa_user_sgpr_dispatch_id 0
		.amdhsa_user_sgpr_flat_scratch_init 0
		.amdhsa_user_sgpr_private_segment_size 0
		.amdhsa_uses_dynamic_stack 0
		.amdhsa_system_sgpr_private_segment_wavefront_offset 1
		.amdhsa_system_sgpr_workgroup_id_x 1
		.amdhsa_system_sgpr_workgroup_id_y 0
		.amdhsa_system_sgpr_workgroup_id_z 0
		.amdhsa_system_sgpr_workgroup_info 0
		.amdhsa_system_vgpr_workitem_id 0
		.amdhsa_next_free_vgpr 38
		.amdhsa_next_free_sgpr 34
		.amdhsa_reserve_vcc 1
		.amdhsa_reserve_flat_scratch 0
		.amdhsa_float_round_mode_32 0
		.amdhsa_float_round_mode_16_64 0
		.amdhsa_float_denorm_mode_32 3
		.amdhsa_float_denorm_mode_16_64 3
		.amdhsa_dx10_clamp 1
		.amdhsa_ieee_mode 1
		.amdhsa_fp16_overflow 0
		.amdhsa_exception_fp_ieee_invalid_op 0
		.amdhsa_exception_fp_denorm_src 0
		.amdhsa_exception_fp_ieee_div_zero 0
		.amdhsa_exception_fp_ieee_overflow 0
		.amdhsa_exception_fp_ieee_underflow 0
		.amdhsa_exception_fp_ieee_inexact 0
		.amdhsa_exception_int_div_zero 0
	.end_amdhsa_kernel
	.section	.text._ZL13mul_mat_f_idsI7__half2Li64ELi3ELi3EEvPKT_PKfPKiS7_S7_Pfiiiiiiiiiiiiii15HIP_vector_typeIjLj3EESA_,"axG",@progbits,_ZL13mul_mat_f_idsI7__half2Li64ELi3ELi3EEvPKT_PKfPKiS7_S7_Pfiiiiiiiiiiiiii15HIP_vector_typeIjLj3EESA_,comdat
.Lfunc_end105:
	.size	_ZL13mul_mat_f_idsI7__half2Li64ELi3ELi3EEvPKT_PKfPKiS7_S7_Pfiiiiiiiiiiiiii15HIP_vector_typeIjLj3EESA_, .Lfunc_end105-_ZL13mul_mat_f_idsI7__half2Li64ELi3ELi3EEvPKT_PKfPKiS7_S7_Pfiiiiiiiiiiiiii15HIP_vector_typeIjLj3EESA_
                                        ; -- End function
	.set _ZL13mul_mat_f_idsI7__half2Li64ELi3ELi3EEvPKT_PKfPKiS7_S7_Pfiiiiiiiiiiiiii15HIP_vector_typeIjLj3EESA_.num_vgpr, max(3, .L_ZL14no_device_codePKciS0_iS0_.num_vgpr)
	.set _ZL13mul_mat_f_idsI7__half2Li64ELi3ELi3EEvPKT_PKfPKiS7_S7_Pfiiiiiiiiiiiiii15HIP_vector_typeIjLj3EESA_.num_agpr, max(0, .L_ZL14no_device_codePKciS0_iS0_.num_agpr)
	.set _ZL13mul_mat_f_idsI7__half2Li64ELi3ELi3EEvPKT_PKfPKiS7_S7_Pfiiiiiiiiiiiiii15HIP_vector_typeIjLj3EESA_.numbered_sgpr, max(33, .L_ZL14no_device_codePKciS0_iS0_.numbered_sgpr)
	.set _ZL13mul_mat_f_idsI7__half2Li64ELi3ELi3EEvPKT_PKfPKiS7_S7_Pfiiiiiiiiiiiiii15HIP_vector_typeIjLj3EESA_.num_named_barrier, max(0, .L_ZL14no_device_codePKciS0_iS0_.num_named_barrier)
	.set _ZL13mul_mat_f_idsI7__half2Li64ELi3ELi3EEvPKT_PKfPKiS7_S7_Pfiiiiiiiiiiiiii15HIP_vector_typeIjLj3EESA_.private_seg_size, 0+max(.L_ZL14no_device_codePKciS0_iS0_.private_seg_size)
	.set _ZL13mul_mat_f_idsI7__half2Li64ELi3ELi3EEvPKT_PKfPKiS7_S7_Pfiiiiiiiiiiiiii15HIP_vector_typeIjLj3EESA_.uses_vcc, or(1, .L_ZL14no_device_codePKciS0_iS0_.uses_vcc)
	.set _ZL13mul_mat_f_idsI7__half2Li64ELi3ELi3EEvPKT_PKfPKiS7_S7_Pfiiiiiiiiiiiiii15HIP_vector_typeIjLj3EESA_.uses_flat_scratch, or(0, .L_ZL14no_device_codePKciS0_iS0_.uses_flat_scratch)
	.set _ZL13mul_mat_f_idsI7__half2Li64ELi3ELi3EEvPKT_PKfPKiS7_S7_Pfiiiiiiiiiiiiii15HIP_vector_typeIjLj3EESA_.has_dyn_sized_stack, or(0, .L_ZL14no_device_codePKciS0_iS0_.has_dyn_sized_stack)
	.set _ZL13mul_mat_f_idsI7__half2Li64ELi3ELi3EEvPKT_PKfPKiS7_S7_Pfiiiiiiiiiiiiii15HIP_vector_typeIjLj3EESA_.has_recursion, or(0, .L_ZL14no_device_codePKciS0_iS0_.has_recursion)
	.set _ZL13mul_mat_f_idsI7__half2Li64ELi3ELi3EEvPKT_PKfPKiS7_S7_Pfiiiiiiiiiiiiii15HIP_vector_typeIjLj3EESA_.has_indirect_call, or(0, .L_ZL14no_device_codePKciS0_iS0_.has_indirect_call)
	.section	.AMDGPU.csdata,"",@progbits
; Kernel info:
; codeLenInByte = 84
; TotalNumSgprs: 38
; NumVgprs: 38
; ScratchSize: 16
; MemoryBound: 0
; FloatMode: 240
; IeeeMode: 1
; LDSByteSize: 0 bytes/workgroup (compile time only)
; SGPRBlocks: 4
; VGPRBlocks: 9
; NumSGPRsForWavesPerEU: 38
; NumVGPRsForWavesPerEU: 38
; Occupancy: 6
; WaveLimiterHint : 1
; COMPUTE_PGM_RSRC2:SCRATCH_EN: 1
; COMPUTE_PGM_RSRC2:USER_SGPR: 6
; COMPUTE_PGM_RSRC2:TRAP_HANDLER: 0
; COMPUTE_PGM_RSRC2:TGID_X_EN: 1
; COMPUTE_PGM_RSRC2:TGID_Y_EN: 0
; COMPUTE_PGM_RSRC2:TGID_Z_EN: 0
; COMPUTE_PGM_RSRC2:TIDIG_COMP_CNT: 0
	.section	.text._ZL9mul_mat_fI7__half2Li64ELi3ELi3ELb1EEvPKT_PKfPKiPfiiiiiiiiiiiiiiii,"axG",@progbits,_ZL9mul_mat_fI7__half2Li64ELi3ELi3ELb1EEvPKT_PKfPKiPfiiiiiiiiiiiiiiii,comdat
	.globl	_ZL9mul_mat_fI7__half2Li64ELi3ELi3ELb1EEvPKT_PKfPKiPfiiiiiiiiiiiiiiii ; -- Begin function _ZL9mul_mat_fI7__half2Li64ELi3ELi3ELb1EEvPKT_PKfPKiPfiiiiiiiiiiiiiiii
	.p2align	8
	.type	_ZL9mul_mat_fI7__half2Li64ELi3ELi3ELb1EEvPKT_PKfPKiPfiiiiiiiiiiiiiiii,@function
_ZL9mul_mat_fI7__half2Li64ELi3ELi3ELb1EEvPKT_PKfPKiPfiiiiiiiiiiiiiiii: ; @_ZL9mul_mat_fI7__half2Li64ELi3ELi3ELb1EEvPKT_PKfPKiPfiiiiiiiiiiiiiiii
; %bb.0:
	s_add_u32 s0, s0, s7
	s_addc_u32 s1, s1, 0
	s_add_u32 s8, s4, 0x60
	s_addc_u32 s9, s5, 0
	s_getpc_b64 s[4:5]
	s_add_u32 s4, s4, __FUNCTION__._ZL9mul_mat_fIfLi32ELi3ELi1ELb1EEvPKT_PKfPKiPfiiiiiiiiiiiiiiii@rel32@lo+4
	s_addc_u32 s5, s5, __FUNCTION__._ZL9mul_mat_fIfLi32ELi3ELi1ELb1EEvPKT_PKfPKiPfiiiiiiiiiiiiiiii@rel32@hi+12
	s_getpc_b64 s[6:7]
	s_add_u32 s6, s6, _ZL14no_device_codePKciS0_iS0_@rel32@lo+4
	s_addc_u32 s7, s7, _ZL14no_device_codePKciS0_iS0_@rel32@hi+12
	v_mov_b32_e32 v0, 0x124
	v_mov_b32_e32 v1, s4
	;; [unrolled: 1-line block ×3, first 2 shown]
	s_mov_b32 s32, 0
	s_swappc_b64 s[30:31], s[6:7]
	.section	.rodata,"a",@progbits
	.p2align	6, 0x0
	.amdhsa_kernel _ZL9mul_mat_fI7__half2Li64ELi3ELi3ELb1EEvPKT_PKfPKiPfiiiiiiiiiiiiiiii
		.amdhsa_group_segment_fixed_size 0
		.amdhsa_private_segment_fixed_size 16
		.amdhsa_kernarg_size 352
		.amdhsa_user_sgpr_count 6
		.amdhsa_user_sgpr_private_segment_buffer 1
		.amdhsa_user_sgpr_dispatch_ptr 0
		.amdhsa_user_sgpr_queue_ptr 0
		.amdhsa_user_sgpr_kernarg_segment_ptr 1
		.amdhsa_user_sgpr_dispatch_id 0
		.amdhsa_user_sgpr_flat_scratch_init 0
		.amdhsa_user_sgpr_private_segment_size 0
		.amdhsa_uses_dynamic_stack 0
		.amdhsa_system_sgpr_private_segment_wavefront_offset 1
		.amdhsa_system_sgpr_workgroup_id_x 1
		.amdhsa_system_sgpr_workgroup_id_y 0
		.amdhsa_system_sgpr_workgroup_id_z 0
		.amdhsa_system_sgpr_workgroup_info 0
		.amdhsa_system_vgpr_workitem_id 0
		.amdhsa_next_free_vgpr 38
		.amdhsa_next_free_sgpr 34
		.amdhsa_reserve_vcc 1
		.amdhsa_reserve_flat_scratch 0
		.amdhsa_float_round_mode_32 0
		.amdhsa_float_round_mode_16_64 0
		.amdhsa_float_denorm_mode_32 3
		.amdhsa_float_denorm_mode_16_64 3
		.amdhsa_dx10_clamp 1
		.amdhsa_ieee_mode 1
		.amdhsa_fp16_overflow 0
		.amdhsa_exception_fp_ieee_invalid_op 0
		.amdhsa_exception_fp_denorm_src 0
		.amdhsa_exception_fp_ieee_div_zero 0
		.amdhsa_exception_fp_ieee_overflow 0
		.amdhsa_exception_fp_ieee_underflow 0
		.amdhsa_exception_fp_ieee_inexact 0
		.amdhsa_exception_int_div_zero 0
	.end_amdhsa_kernel
	.section	.text._ZL9mul_mat_fI7__half2Li64ELi3ELi3ELb1EEvPKT_PKfPKiPfiiiiiiiiiiiiiiii,"axG",@progbits,_ZL9mul_mat_fI7__half2Li64ELi3ELi3ELb1EEvPKT_PKfPKiPfiiiiiiiiiiiiiiii,comdat
.Lfunc_end106:
	.size	_ZL9mul_mat_fI7__half2Li64ELi3ELi3ELb1EEvPKT_PKfPKiPfiiiiiiiiiiiiiiii, .Lfunc_end106-_ZL9mul_mat_fI7__half2Li64ELi3ELi3ELb1EEvPKT_PKfPKiPfiiiiiiiiiiiiiiii
                                        ; -- End function
	.set _ZL9mul_mat_fI7__half2Li64ELi3ELi3ELb1EEvPKT_PKfPKiPfiiiiiiiiiiiiiiii.num_vgpr, max(3, .L_ZL14no_device_codePKciS0_iS0_.num_vgpr)
	.set _ZL9mul_mat_fI7__half2Li64ELi3ELi3ELb1EEvPKT_PKfPKiPfiiiiiiiiiiiiiiii.num_agpr, max(0, .L_ZL14no_device_codePKciS0_iS0_.num_agpr)
	.set _ZL9mul_mat_fI7__half2Li64ELi3ELi3ELb1EEvPKT_PKfPKiPfiiiiiiiiiiiiiiii.numbered_sgpr, max(33, .L_ZL14no_device_codePKciS0_iS0_.numbered_sgpr)
	.set _ZL9mul_mat_fI7__half2Li64ELi3ELi3ELb1EEvPKT_PKfPKiPfiiiiiiiiiiiiiiii.num_named_barrier, max(0, .L_ZL14no_device_codePKciS0_iS0_.num_named_barrier)
	.set _ZL9mul_mat_fI7__half2Li64ELi3ELi3ELb1EEvPKT_PKfPKiPfiiiiiiiiiiiiiiii.private_seg_size, 0+max(.L_ZL14no_device_codePKciS0_iS0_.private_seg_size)
	.set _ZL9mul_mat_fI7__half2Li64ELi3ELi3ELb1EEvPKT_PKfPKiPfiiiiiiiiiiiiiiii.uses_vcc, or(1, .L_ZL14no_device_codePKciS0_iS0_.uses_vcc)
	.set _ZL9mul_mat_fI7__half2Li64ELi3ELi3ELb1EEvPKT_PKfPKiPfiiiiiiiiiiiiiiii.uses_flat_scratch, or(0, .L_ZL14no_device_codePKciS0_iS0_.uses_flat_scratch)
	.set _ZL9mul_mat_fI7__half2Li64ELi3ELi3ELb1EEvPKT_PKfPKiPfiiiiiiiiiiiiiiii.has_dyn_sized_stack, or(0, .L_ZL14no_device_codePKciS0_iS0_.has_dyn_sized_stack)
	.set _ZL9mul_mat_fI7__half2Li64ELi3ELi3ELb1EEvPKT_PKfPKiPfiiiiiiiiiiiiiiii.has_recursion, or(0, .L_ZL14no_device_codePKciS0_iS0_.has_recursion)
	.set _ZL9mul_mat_fI7__half2Li64ELi3ELi3ELb1EEvPKT_PKfPKiPfiiiiiiiiiiiiiiii.has_indirect_call, or(0, .L_ZL14no_device_codePKciS0_iS0_.has_indirect_call)
	.section	.AMDGPU.csdata,"",@progbits
; Kernel info:
; codeLenInByte = 84
; TotalNumSgprs: 38
; NumVgprs: 38
; ScratchSize: 16
; MemoryBound: 0
; FloatMode: 240
; IeeeMode: 1
; LDSByteSize: 0 bytes/workgroup (compile time only)
; SGPRBlocks: 4
; VGPRBlocks: 9
; NumSGPRsForWavesPerEU: 38
; NumVGPRsForWavesPerEU: 38
; Occupancy: 6
; WaveLimiterHint : 1
; COMPUTE_PGM_RSRC2:SCRATCH_EN: 1
; COMPUTE_PGM_RSRC2:USER_SGPR: 6
; COMPUTE_PGM_RSRC2:TRAP_HANDLER: 0
; COMPUTE_PGM_RSRC2:TGID_X_EN: 1
; COMPUTE_PGM_RSRC2:TGID_Y_EN: 0
; COMPUTE_PGM_RSRC2:TGID_Z_EN: 0
; COMPUTE_PGM_RSRC2:TIDIG_COMP_CNT: 0
	.section	.text._ZL9mul_mat_fI7__half2Li64ELi3ELi3ELb0EEvPKT_PKfPKiPfiiiiiiiiiiiiiiii,"axG",@progbits,_ZL9mul_mat_fI7__half2Li64ELi3ELi3ELb0EEvPKT_PKfPKiPfiiiiiiiiiiiiiiii,comdat
	.globl	_ZL9mul_mat_fI7__half2Li64ELi3ELi3ELb0EEvPKT_PKfPKiPfiiiiiiiiiiiiiiii ; -- Begin function _ZL9mul_mat_fI7__half2Li64ELi3ELi3ELb0EEvPKT_PKfPKiPfiiiiiiiiiiiiiiii
	.p2align	8
	.type	_ZL9mul_mat_fI7__half2Li64ELi3ELi3ELb0EEvPKT_PKfPKiPfiiiiiiiiiiiiiiii,@function
_ZL9mul_mat_fI7__half2Li64ELi3ELi3ELb0EEvPKT_PKfPKiPfiiiiiiiiiiiiiiii: ; @_ZL9mul_mat_fI7__half2Li64ELi3ELi3ELb0EEvPKT_PKfPKiPfiiiiiiiiiiiiiiii
; %bb.0:
	s_add_u32 s0, s0, s7
	s_addc_u32 s1, s1, 0
	s_add_u32 s8, s4, 0x60
	s_addc_u32 s9, s5, 0
	s_getpc_b64 s[4:5]
	s_add_u32 s4, s4, __FUNCTION__._ZL9mul_mat_fIfLi32ELi3ELi1ELb1EEvPKT_PKfPKiPfiiiiiiiiiiiiiiii@rel32@lo+4
	s_addc_u32 s5, s5, __FUNCTION__._ZL9mul_mat_fIfLi32ELi3ELi1ELb1EEvPKT_PKfPKiPfiiiiiiiiiiiiiiii@rel32@hi+12
	s_getpc_b64 s[6:7]
	s_add_u32 s6, s6, _ZL14no_device_codePKciS0_iS0_@rel32@lo+4
	s_addc_u32 s7, s7, _ZL14no_device_codePKciS0_iS0_@rel32@hi+12
	v_mov_b32_e32 v0, 0x124
	v_mov_b32_e32 v1, s4
	;; [unrolled: 1-line block ×3, first 2 shown]
	s_mov_b32 s32, 0
	s_swappc_b64 s[30:31], s[6:7]
	.section	.rodata,"a",@progbits
	.p2align	6, 0x0
	.amdhsa_kernel _ZL9mul_mat_fI7__half2Li64ELi3ELi3ELb0EEvPKT_PKfPKiPfiiiiiiiiiiiiiiii
		.amdhsa_group_segment_fixed_size 0
		.amdhsa_private_segment_fixed_size 16
		.amdhsa_kernarg_size 352
		.amdhsa_user_sgpr_count 6
		.amdhsa_user_sgpr_private_segment_buffer 1
		.amdhsa_user_sgpr_dispatch_ptr 0
		.amdhsa_user_sgpr_queue_ptr 0
		.amdhsa_user_sgpr_kernarg_segment_ptr 1
		.amdhsa_user_sgpr_dispatch_id 0
		.amdhsa_user_sgpr_flat_scratch_init 0
		.amdhsa_user_sgpr_private_segment_size 0
		.amdhsa_uses_dynamic_stack 0
		.amdhsa_system_sgpr_private_segment_wavefront_offset 1
		.amdhsa_system_sgpr_workgroup_id_x 1
		.amdhsa_system_sgpr_workgroup_id_y 0
		.amdhsa_system_sgpr_workgroup_id_z 0
		.amdhsa_system_sgpr_workgroup_info 0
		.amdhsa_system_vgpr_workitem_id 0
		.amdhsa_next_free_vgpr 38
		.amdhsa_next_free_sgpr 34
		.amdhsa_reserve_vcc 1
		.amdhsa_reserve_flat_scratch 0
		.amdhsa_float_round_mode_32 0
		.amdhsa_float_round_mode_16_64 0
		.amdhsa_float_denorm_mode_32 3
		.amdhsa_float_denorm_mode_16_64 3
		.amdhsa_dx10_clamp 1
		.amdhsa_ieee_mode 1
		.amdhsa_fp16_overflow 0
		.amdhsa_exception_fp_ieee_invalid_op 0
		.amdhsa_exception_fp_denorm_src 0
		.amdhsa_exception_fp_ieee_div_zero 0
		.amdhsa_exception_fp_ieee_overflow 0
		.amdhsa_exception_fp_ieee_underflow 0
		.amdhsa_exception_fp_ieee_inexact 0
		.amdhsa_exception_int_div_zero 0
	.end_amdhsa_kernel
	.section	.text._ZL9mul_mat_fI7__half2Li64ELi3ELi3ELb0EEvPKT_PKfPKiPfiiiiiiiiiiiiiiii,"axG",@progbits,_ZL9mul_mat_fI7__half2Li64ELi3ELi3ELb0EEvPKT_PKfPKiPfiiiiiiiiiiiiiiii,comdat
.Lfunc_end107:
	.size	_ZL9mul_mat_fI7__half2Li64ELi3ELi3ELb0EEvPKT_PKfPKiPfiiiiiiiiiiiiiiii, .Lfunc_end107-_ZL9mul_mat_fI7__half2Li64ELi3ELi3ELb0EEvPKT_PKfPKiPfiiiiiiiiiiiiiiii
                                        ; -- End function
	.set _ZL9mul_mat_fI7__half2Li64ELi3ELi3ELb0EEvPKT_PKfPKiPfiiiiiiiiiiiiiiii.num_vgpr, max(3, .L_ZL14no_device_codePKciS0_iS0_.num_vgpr)
	.set _ZL9mul_mat_fI7__half2Li64ELi3ELi3ELb0EEvPKT_PKfPKiPfiiiiiiiiiiiiiiii.num_agpr, max(0, .L_ZL14no_device_codePKciS0_iS0_.num_agpr)
	.set _ZL9mul_mat_fI7__half2Li64ELi3ELi3ELb0EEvPKT_PKfPKiPfiiiiiiiiiiiiiiii.numbered_sgpr, max(33, .L_ZL14no_device_codePKciS0_iS0_.numbered_sgpr)
	.set _ZL9mul_mat_fI7__half2Li64ELi3ELi3ELb0EEvPKT_PKfPKiPfiiiiiiiiiiiiiiii.num_named_barrier, max(0, .L_ZL14no_device_codePKciS0_iS0_.num_named_barrier)
	.set _ZL9mul_mat_fI7__half2Li64ELi3ELi3ELb0EEvPKT_PKfPKiPfiiiiiiiiiiiiiiii.private_seg_size, 0+max(.L_ZL14no_device_codePKciS0_iS0_.private_seg_size)
	.set _ZL9mul_mat_fI7__half2Li64ELi3ELi3ELb0EEvPKT_PKfPKiPfiiiiiiiiiiiiiiii.uses_vcc, or(1, .L_ZL14no_device_codePKciS0_iS0_.uses_vcc)
	.set _ZL9mul_mat_fI7__half2Li64ELi3ELi3ELb0EEvPKT_PKfPKiPfiiiiiiiiiiiiiiii.uses_flat_scratch, or(0, .L_ZL14no_device_codePKciS0_iS0_.uses_flat_scratch)
	.set _ZL9mul_mat_fI7__half2Li64ELi3ELi3ELb0EEvPKT_PKfPKiPfiiiiiiiiiiiiiiii.has_dyn_sized_stack, or(0, .L_ZL14no_device_codePKciS0_iS0_.has_dyn_sized_stack)
	.set _ZL9mul_mat_fI7__half2Li64ELi3ELi3ELb0EEvPKT_PKfPKiPfiiiiiiiiiiiiiiii.has_recursion, or(0, .L_ZL14no_device_codePKciS0_iS0_.has_recursion)
	.set _ZL9mul_mat_fI7__half2Li64ELi3ELi3ELb0EEvPKT_PKfPKiPfiiiiiiiiiiiiiiii.has_indirect_call, or(0, .L_ZL14no_device_codePKciS0_iS0_.has_indirect_call)
	.section	.AMDGPU.csdata,"",@progbits
; Kernel info:
; codeLenInByte = 84
; TotalNumSgprs: 38
; NumVgprs: 38
; ScratchSize: 16
; MemoryBound: 0
; FloatMode: 240
; IeeeMode: 1
; LDSByteSize: 0 bytes/workgroup (compile time only)
; SGPRBlocks: 4
; VGPRBlocks: 9
; NumSGPRsForWavesPerEU: 38
; NumVGPRsForWavesPerEU: 38
; Occupancy: 6
; WaveLimiterHint : 1
; COMPUTE_PGM_RSRC2:SCRATCH_EN: 1
; COMPUTE_PGM_RSRC2:USER_SGPR: 6
; COMPUTE_PGM_RSRC2:TRAP_HANDLER: 0
; COMPUTE_PGM_RSRC2:TGID_X_EN: 1
; COMPUTE_PGM_RSRC2:TGID_Y_EN: 0
; COMPUTE_PGM_RSRC2:TGID_Z_EN: 0
; COMPUTE_PGM_RSRC2:TIDIG_COMP_CNT: 0
	.section	.text._ZL13mul_mat_f_idsI7__half2Li64ELi3ELi4EEvPKT_PKfPKiS7_S7_Pfiiiiiiiiiiiiii15HIP_vector_typeIjLj3EESA_,"axG",@progbits,_ZL13mul_mat_f_idsI7__half2Li64ELi3ELi4EEvPKT_PKfPKiS7_S7_Pfiiiiiiiiiiiiii15HIP_vector_typeIjLj3EESA_,comdat
	.globl	_ZL13mul_mat_f_idsI7__half2Li64ELi3ELi4EEvPKT_PKfPKiS7_S7_Pfiiiiiiiiiiiiii15HIP_vector_typeIjLj3EESA_ ; -- Begin function _ZL13mul_mat_f_idsI7__half2Li64ELi3ELi4EEvPKT_PKfPKiS7_S7_Pfiiiiiiiiiiiiii15HIP_vector_typeIjLj3EESA_
	.p2align	8
	.type	_ZL13mul_mat_f_idsI7__half2Li64ELi3ELi4EEvPKT_PKfPKiS7_S7_Pfiiiiiiiiiiiiii15HIP_vector_typeIjLj3EESA_,@function
_ZL13mul_mat_f_idsI7__half2Li64ELi3ELi4EEvPKT_PKfPKiS7_S7_Pfiiiiiiiiiiiiii15HIP_vector_typeIjLj3EESA_: ; @_ZL13mul_mat_f_idsI7__half2Li64ELi3ELi4EEvPKT_PKfPKiS7_S7_Pfiiiiiiiiiiiiii15HIP_vector_typeIjLj3EESA_
; %bb.0:
	s_add_u32 s0, s0, s7
	s_addc_u32 s1, s1, 0
	s_add_u32 s8, s4, 0x80
	s_addc_u32 s9, s5, 0
	s_getpc_b64 s[4:5]
	s_add_u32 s4, s4, __FUNCTION__._ZL13mul_mat_f_idsIfLi32ELi3ELi1EEvPKT_PKfPKiS6_S6_Pfiiiiiiiiiiiiii15HIP_vector_typeIjLj3EES9_@rel32@lo+4
	s_addc_u32 s5, s5, __FUNCTION__._ZL13mul_mat_f_idsIfLi32ELi3ELi1EEvPKT_PKfPKiS6_S6_Pfiiiiiiiiiiiiii15HIP_vector_typeIjLj3EES9_@rel32@hi+12
	s_getpc_b64 s[6:7]
	s_add_u32 s6, s6, _ZL14no_device_codePKciS0_iS0_@rel32@lo+4
	s_addc_u32 s7, s7, _ZL14no_device_codePKciS0_iS0_@rel32@hi+12
	v_mov_b32_e32 v0, 0x238
	v_mov_b32_e32 v1, s4
	;; [unrolled: 1-line block ×3, first 2 shown]
	s_mov_b32 s32, 0
	s_swappc_b64 s[30:31], s[6:7]
	.section	.rodata,"a",@progbits
	.p2align	6, 0x0
	.amdhsa_kernel _ZL13mul_mat_f_idsI7__half2Li64ELi3ELi4EEvPKT_PKfPKiS7_S7_Pfiiiiiiiiiiiiii15HIP_vector_typeIjLj3EESA_
		.amdhsa_group_segment_fixed_size 0
		.amdhsa_private_segment_fixed_size 16
		.amdhsa_kernarg_size 384
		.amdhsa_user_sgpr_count 6
		.amdhsa_user_sgpr_private_segment_buffer 1
		.amdhsa_user_sgpr_dispatch_ptr 0
		.amdhsa_user_sgpr_queue_ptr 0
		.amdhsa_user_sgpr_kernarg_segment_ptr 1
		.amdhsa_user_sgpr_dispatch_id 0
		.amdhsa_user_sgpr_flat_scratch_init 0
		.amdhsa_user_sgpr_private_segment_size 0
		.amdhsa_uses_dynamic_stack 0
		.amdhsa_system_sgpr_private_segment_wavefront_offset 1
		.amdhsa_system_sgpr_workgroup_id_x 1
		.amdhsa_system_sgpr_workgroup_id_y 0
		.amdhsa_system_sgpr_workgroup_id_z 0
		.amdhsa_system_sgpr_workgroup_info 0
		.amdhsa_system_vgpr_workitem_id 0
		.amdhsa_next_free_vgpr 38
		.amdhsa_next_free_sgpr 34
		.amdhsa_reserve_vcc 1
		.amdhsa_reserve_flat_scratch 0
		.amdhsa_float_round_mode_32 0
		.amdhsa_float_round_mode_16_64 0
		.amdhsa_float_denorm_mode_32 3
		.amdhsa_float_denorm_mode_16_64 3
		.amdhsa_dx10_clamp 1
		.amdhsa_ieee_mode 1
		.amdhsa_fp16_overflow 0
		.amdhsa_exception_fp_ieee_invalid_op 0
		.amdhsa_exception_fp_denorm_src 0
		.amdhsa_exception_fp_ieee_div_zero 0
		.amdhsa_exception_fp_ieee_overflow 0
		.amdhsa_exception_fp_ieee_underflow 0
		.amdhsa_exception_fp_ieee_inexact 0
		.amdhsa_exception_int_div_zero 0
	.end_amdhsa_kernel
	.section	.text._ZL13mul_mat_f_idsI7__half2Li64ELi3ELi4EEvPKT_PKfPKiS7_S7_Pfiiiiiiiiiiiiii15HIP_vector_typeIjLj3EESA_,"axG",@progbits,_ZL13mul_mat_f_idsI7__half2Li64ELi3ELi4EEvPKT_PKfPKiS7_S7_Pfiiiiiiiiiiiiii15HIP_vector_typeIjLj3EESA_,comdat
.Lfunc_end108:
	.size	_ZL13mul_mat_f_idsI7__half2Li64ELi3ELi4EEvPKT_PKfPKiS7_S7_Pfiiiiiiiiiiiiii15HIP_vector_typeIjLj3EESA_, .Lfunc_end108-_ZL13mul_mat_f_idsI7__half2Li64ELi3ELi4EEvPKT_PKfPKiS7_S7_Pfiiiiiiiiiiiiii15HIP_vector_typeIjLj3EESA_
                                        ; -- End function
	.set _ZL13mul_mat_f_idsI7__half2Li64ELi3ELi4EEvPKT_PKfPKiS7_S7_Pfiiiiiiiiiiiiii15HIP_vector_typeIjLj3EESA_.num_vgpr, max(3, .L_ZL14no_device_codePKciS0_iS0_.num_vgpr)
	.set _ZL13mul_mat_f_idsI7__half2Li64ELi3ELi4EEvPKT_PKfPKiS7_S7_Pfiiiiiiiiiiiiii15HIP_vector_typeIjLj3EESA_.num_agpr, max(0, .L_ZL14no_device_codePKciS0_iS0_.num_agpr)
	.set _ZL13mul_mat_f_idsI7__half2Li64ELi3ELi4EEvPKT_PKfPKiS7_S7_Pfiiiiiiiiiiiiii15HIP_vector_typeIjLj3EESA_.numbered_sgpr, max(33, .L_ZL14no_device_codePKciS0_iS0_.numbered_sgpr)
	.set _ZL13mul_mat_f_idsI7__half2Li64ELi3ELi4EEvPKT_PKfPKiS7_S7_Pfiiiiiiiiiiiiii15HIP_vector_typeIjLj3EESA_.num_named_barrier, max(0, .L_ZL14no_device_codePKciS0_iS0_.num_named_barrier)
	.set _ZL13mul_mat_f_idsI7__half2Li64ELi3ELi4EEvPKT_PKfPKiS7_S7_Pfiiiiiiiiiiiiii15HIP_vector_typeIjLj3EESA_.private_seg_size, 0+max(.L_ZL14no_device_codePKciS0_iS0_.private_seg_size)
	.set _ZL13mul_mat_f_idsI7__half2Li64ELi3ELi4EEvPKT_PKfPKiS7_S7_Pfiiiiiiiiiiiiii15HIP_vector_typeIjLj3EESA_.uses_vcc, or(1, .L_ZL14no_device_codePKciS0_iS0_.uses_vcc)
	.set _ZL13mul_mat_f_idsI7__half2Li64ELi3ELi4EEvPKT_PKfPKiS7_S7_Pfiiiiiiiiiiiiii15HIP_vector_typeIjLj3EESA_.uses_flat_scratch, or(0, .L_ZL14no_device_codePKciS0_iS0_.uses_flat_scratch)
	.set _ZL13mul_mat_f_idsI7__half2Li64ELi3ELi4EEvPKT_PKfPKiS7_S7_Pfiiiiiiiiiiiiii15HIP_vector_typeIjLj3EESA_.has_dyn_sized_stack, or(0, .L_ZL14no_device_codePKciS0_iS0_.has_dyn_sized_stack)
	.set _ZL13mul_mat_f_idsI7__half2Li64ELi3ELi4EEvPKT_PKfPKiS7_S7_Pfiiiiiiiiiiiiii15HIP_vector_typeIjLj3EESA_.has_recursion, or(0, .L_ZL14no_device_codePKciS0_iS0_.has_recursion)
	.set _ZL13mul_mat_f_idsI7__half2Li64ELi3ELi4EEvPKT_PKfPKiS7_S7_Pfiiiiiiiiiiiiii15HIP_vector_typeIjLj3EESA_.has_indirect_call, or(0, .L_ZL14no_device_codePKciS0_iS0_.has_indirect_call)
	.section	.AMDGPU.csdata,"",@progbits
; Kernel info:
; codeLenInByte = 84
; TotalNumSgprs: 38
; NumVgprs: 38
; ScratchSize: 16
; MemoryBound: 0
; FloatMode: 240
; IeeeMode: 1
; LDSByteSize: 0 bytes/workgroup (compile time only)
; SGPRBlocks: 4
; VGPRBlocks: 9
; NumSGPRsForWavesPerEU: 38
; NumVGPRsForWavesPerEU: 38
; Occupancy: 6
; WaveLimiterHint : 1
; COMPUTE_PGM_RSRC2:SCRATCH_EN: 1
; COMPUTE_PGM_RSRC2:USER_SGPR: 6
; COMPUTE_PGM_RSRC2:TRAP_HANDLER: 0
; COMPUTE_PGM_RSRC2:TGID_X_EN: 1
; COMPUTE_PGM_RSRC2:TGID_Y_EN: 0
; COMPUTE_PGM_RSRC2:TGID_Z_EN: 0
; COMPUTE_PGM_RSRC2:TIDIG_COMP_CNT: 0
	.section	.text._ZL9mul_mat_fI7__half2Li64ELi3ELi4ELb1EEvPKT_PKfPKiPfiiiiiiiiiiiiiiii,"axG",@progbits,_ZL9mul_mat_fI7__half2Li64ELi3ELi4ELb1EEvPKT_PKfPKiPfiiiiiiiiiiiiiiii,comdat
	.globl	_ZL9mul_mat_fI7__half2Li64ELi3ELi4ELb1EEvPKT_PKfPKiPfiiiiiiiiiiiiiiii ; -- Begin function _ZL9mul_mat_fI7__half2Li64ELi3ELi4ELb1EEvPKT_PKfPKiPfiiiiiiiiiiiiiiii
	.p2align	8
	.type	_ZL9mul_mat_fI7__half2Li64ELi3ELi4ELb1EEvPKT_PKfPKiPfiiiiiiiiiiiiiiii,@function
_ZL9mul_mat_fI7__half2Li64ELi3ELi4ELb1EEvPKT_PKfPKiPfiiiiiiiiiiiiiiii: ; @_ZL9mul_mat_fI7__half2Li64ELi3ELi4ELb1EEvPKT_PKfPKiPfiiiiiiiiiiiiiiii
; %bb.0:
	s_add_u32 s0, s0, s7
	s_addc_u32 s1, s1, 0
	s_add_u32 s8, s4, 0x60
	s_addc_u32 s9, s5, 0
	s_getpc_b64 s[4:5]
	s_add_u32 s4, s4, __FUNCTION__._ZL9mul_mat_fIfLi32ELi3ELi1ELb1EEvPKT_PKfPKiPfiiiiiiiiiiiiiiii@rel32@lo+4
	s_addc_u32 s5, s5, __FUNCTION__._ZL9mul_mat_fIfLi32ELi3ELi1ELb1EEvPKT_PKfPKiPfiiiiiiiiiiiiiiii@rel32@hi+12
	s_getpc_b64 s[6:7]
	s_add_u32 s6, s6, _ZL14no_device_codePKciS0_iS0_@rel32@lo+4
	s_addc_u32 s7, s7, _ZL14no_device_codePKciS0_iS0_@rel32@hi+12
	v_mov_b32_e32 v0, 0x124
	v_mov_b32_e32 v1, s4
	;; [unrolled: 1-line block ×3, first 2 shown]
	s_mov_b32 s32, 0
	s_swappc_b64 s[30:31], s[6:7]
	.section	.rodata,"a",@progbits
	.p2align	6, 0x0
	.amdhsa_kernel _ZL9mul_mat_fI7__half2Li64ELi3ELi4ELb1EEvPKT_PKfPKiPfiiiiiiiiiiiiiiii
		.amdhsa_group_segment_fixed_size 0
		.amdhsa_private_segment_fixed_size 16
		.amdhsa_kernarg_size 352
		.amdhsa_user_sgpr_count 6
		.amdhsa_user_sgpr_private_segment_buffer 1
		.amdhsa_user_sgpr_dispatch_ptr 0
		.amdhsa_user_sgpr_queue_ptr 0
		.amdhsa_user_sgpr_kernarg_segment_ptr 1
		.amdhsa_user_sgpr_dispatch_id 0
		.amdhsa_user_sgpr_flat_scratch_init 0
		.amdhsa_user_sgpr_private_segment_size 0
		.amdhsa_uses_dynamic_stack 0
		.amdhsa_system_sgpr_private_segment_wavefront_offset 1
		.amdhsa_system_sgpr_workgroup_id_x 1
		.amdhsa_system_sgpr_workgroup_id_y 0
		.amdhsa_system_sgpr_workgroup_id_z 0
		.amdhsa_system_sgpr_workgroup_info 0
		.amdhsa_system_vgpr_workitem_id 0
		.amdhsa_next_free_vgpr 38
		.amdhsa_next_free_sgpr 34
		.amdhsa_reserve_vcc 1
		.amdhsa_reserve_flat_scratch 0
		.amdhsa_float_round_mode_32 0
		.amdhsa_float_round_mode_16_64 0
		.amdhsa_float_denorm_mode_32 3
		.amdhsa_float_denorm_mode_16_64 3
		.amdhsa_dx10_clamp 1
		.amdhsa_ieee_mode 1
		.amdhsa_fp16_overflow 0
		.amdhsa_exception_fp_ieee_invalid_op 0
		.amdhsa_exception_fp_denorm_src 0
		.amdhsa_exception_fp_ieee_div_zero 0
		.amdhsa_exception_fp_ieee_overflow 0
		.amdhsa_exception_fp_ieee_underflow 0
		.amdhsa_exception_fp_ieee_inexact 0
		.amdhsa_exception_int_div_zero 0
	.end_amdhsa_kernel
	.section	.text._ZL9mul_mat_fI7__half2Li64ELi3ELi4ELb1EEvPKT_PKfPKiPfiiiiiiiiiiiiiiii,"axG",@progbits,_ZL9mul_mat_fI7__half2Li64ELi3ELi4ELb1EEvPKT_PKfPKiPfiiiiiiiiiiiiiiii,comdat
.Lfunc_end109:
	.size	_ZL9mul_mat_fI7__half2Li64ELi3ELi4ELb1EEvPKT_PKfPKiPfiiiiiiiiiiiiiiii, .Lfunc_end109-_ZL9mul_mat_fI7__half2Li64ELi3ELi4ELb1EEvPKT_PKfPKiPfiiiiiiiiiiiiiiii
                                        ; -- End function
	.set _ZL9mul_mat_fI7__half2Li64ELi3ELi4ELb1EEvPKT_PKfPKiPfiiiiiiiiiiiiiiii.num_vgpr, max(3, .L_ZL14no_device_codePKciS0_iS0_.num_vgpr)
	.set _ZL9mul_mat_fI7__half2Li64ELi3ELi4ELb1EEvPKT_PKfPKiPfiiiiiiiiiiiiiiii.num_agpr, max(0, .L_ZL14no_device_codePKciS0_iS0_.num_agpr)
	.set _ZL9mul_mat_fI7__half2Li64ELi3ELi4ELb1EEvPKT_PKfPKiPfiiiiiiiiiiiiiiii.numbered_sgpr, max(33, .L_ZL14no_device_codePKciS0_iS0_.numbered_sgpr)
	.set _ZL9mul_mat_fI7__half2Li64ELi3ELi4ELb1EEvPKT_PKfPKiPfiiiiiiiiiiiiiiii.num_named_barrier, max(0, .L_ZL14no_device_codePKciS0_iS0_.num_named_barrier)
	.set _ZL9mul_mat_fI7__half2Li64ELi3ELi4ELb1EEvPKT_PKfPKiPfiiiiiiiiiiiiiiii.private_seg_size, 0+max(.L_ZL14no_device_codePKciS0_iS0_.private_seg_size)
	.set _ZL9mul_mat_fI7__half2Li64ELi3ELi4ELb1EEvPKT_PKfPKiPfiiiiiiiiiiiiiiii.uses_vcc, or(1, .L_ZL14no_device_codePKciS0_iS0_.uses_vcc)
	.set _ZL9mul_mat_fI7__half2Li64ELi3ELi4ELb1EEvPKT_PKfPKiPfiiiiiiiiiiiiiiii.uses_flat_scratch, or(0, .L_ZL14no_device_codePKciS0_iS0_.uses_flat_scratch)
	.set _ZL9mul_mat_fI7__half2Li64ELi3ELi4ELb1EEvPKT_PKfPKiPfiiiiiiiiiiiiiiii.has_dyn_sized_stack, or(0, .L_ZL14no_device_codePKciS0_iS0_.has_dyn_sized_stack)
	.set _ZL9mul_mat_fI7__half2Li64ELi3ELi4ELb1EEvPKT_PKfPKiPfiiiiiiiiiiiiiiii.has_recursion, or(0, .L_ZL14no_device_codePKciS0_iS0_.has_recursion)
	.set _ZL9mul_mat_fI7__half2Li64ELi3ELi4ELb1EEvPKT_PKfPKiPfiiiiiiiiiiiiiiii.has_indirect_call, or(0, .L_ZL14no_device_codePKciS0_iS0_.has_indirect_call)
	.section	.AMDGPU.csdata,"",@progbits
; Kernel info:
; codeLenInByte = 84
; TotalNumSgprs: 38
; NumVgprs: 38
; ScratchSize: 16
; MemoryBound: 0
; FloatMode: 240
; IeeeMode: 1
; LDSByteSize: 0 bytes/workgroup (compile time only)
; SGPRBlocks: 4
; VGPRBlocks: 9
; NumSGPRsForWavesPerEU: 38
; NumVGPRsForWavesPerEU: 38
; Occupancy: 6
; WaveLimiterHint : 1
; COMPUTE_PGM_RSRC2:SCRATCH_EN: 1
; COMPUTE_PGM_RSRC2:USER_SGPR: 6
; COMPUTE_PGM_RSRC2:TRAP_HANDLER: 0
; COMPUTE_PGM_RSRC2:TGID_X_EN: 1
; COMPUTE_PGM_RSRC2:TGID_Y_EN: 0
; COMPUTE_PGM_RSRC2:TGID_Z_EN: 0
; COMPUTE_PGM_RSRC2:TIDIG_COMP_CNT: 0
	.section	.text._ZL9mul_mat_fI7__half2Li64ELi3ELi4ELb0EEvPKT_PKfPKiPfiiiiiiiiiiiiiiii,"axG",@progbits,_ZL9mul_mat_fI7__half2Li64ELi3ELi4ELb0EEvPKT_PKfPKiPfiiiiiiiiiiiiiiii,comdat
	.globl	_ZL9mul_mat_fI7__half2Li64ELi3ELi4ELb0EEvPKT_PKfPKiPfiiiiiiiiiiiiiiii ; -- Begin function _ZL9mul_mat_fI7__half2Li64ELi3ELi4ELb0EEvPKT_PKfPKiPfiiiiiiiiiiiiiiii
	.p2align	8
	.type	_ZL9mul_mat_fI7__half2Li64ELi3ELi4ELb0EEvPKT_PKfPKiPfiiiiiiiiiiiiiiii,@function
_ZL9mul_mat_fI7__half2Li64ELi3ELi4ELb0EEvPKT_PKfPKiPfiiiiiiiiiiiiiiii: ; @_ZL9mul_mat_fI7__half2Li64ELi3ELi4ELb0EEvPKT_PKfPKiPfiiiiiiiiiiiiiiii
; %bb.0:
	s_add_u32 s0, s0, s7
	s_addc_u32 s1, s1, 0
	s_add_u32 s8, s4, 0x60
	s_addc_u32 s9, s5, 0
	s_getpc_b64 s[4:5]
	s_add_u32 s4, s4, __FUNCTION__._ZL9mul_mat_fIfLi32ELi3ELi1ELb1EEvPKT_PKfPKiPfiiiiiiiiiiiiiiii@rel32@lo+4
	s_addc_u32 s5, s5, __FUNCTION__._ZL9mul_mat_fIfLi32ELi3ELi1ELb1EEvPKT_PKfPKiPfiiiiiiiiiiiiiiii@rel32@hi+12
	s_getpc_b64 s[6:7]
	s_add_u32 s6, s6, _ZL14no_device_codePKciS0_iS0_@rel32@lo+4
	s_addc_u32 s7, s7, _ZL14no_device_codePKciS0_iS0_@rel32@hi+12
	v_mov_b32_e32 v0, 0x124
	v_mov_b32_e32 v1, s4
	;; [unrolled: 1-line block ×3, first 2 shown]
	s_mov_b32 s32, 0
	s_swappc_b64 s[30:31], s[6:7]
	.section	.rodata,"a",@progbits
	.p2align	6, 0x0
	.amdhsa_kernel _ZL9mul_mat_fI7__half2Li64ELi3ELi4ELb0EEvPKT_PKfPKiPfiiiiiiiiiiiiiiii
		.amdhsa_group_segment_fixed_size 0
		.amdhsa_private_segment_fixed_size 16
		.amdhsa_kernarg_size 352
		.amdhsa_user_sgpr_count 6
		.amdhsa_user_sgpr_private_segment_buffer 1
		.amdhsa_user_sgpr_dispatch_ptr 0
		.amdhsa_user_sgpr_queue_ptr 0
		.amdhsa_user_sgpr_kernarg_segment_ptr 1
		.amdhsa_user_sgpr_dispatch_id 0
		.amdhsa_user_sgpr_flat_scratch_init 0
		.amdhsa_user_sgpr_private_segment_size 0
		.amdhsa_uses_dynamic_stack 0
		.amdhsa_system_sgpr_private_segment_wavefront_offset 1
		.amdhsa_system_sgpr_workgroup_id_x 1
		.amdhsa_system_sgpr_workgroup_id_y 0
		.amdhsa_system_sgpr_workgroup_id_z 0
		.amdhsa_system_sgpr_workgroup_info 0
		.amdhsa_system_vgpr_workitem_id 0
		.amdhsa_next_free_vgpr 38
		.amdhsa_next_free_sgpr 34
		.amdhsa_reserve_vcc 1
		.amdhsa_reserve_flat_scratch 0
		.amdhsa_float_round_mode_32 0
		.amdhsa_float_round_mode_16_64 0
		.amdhsa_float_denorm_mode_32 3
		.amdhsa_float_denorm_mode_16_64 3
		.amdhsa_dx10_clamp 1
		.amdhsa_ieee_mode 1
		.amdhsa_fp16_overflow 0
		.amdhsa_exception_fp_ieee_invalid_op 0
		.amdhsa_exception_fp_denorm_src 0
		.amdhsa_exception_fp_ieee_div_zero 0
		.amdhsa_exception_fp_ieee_overflow 0
		.amdhsa_exception_fp_ieee_underflow 0
		.amdhsa_exception_fp_ieee_inexact 0
		.amdhsa_exception_int_div_zero 0
	.end_amdhsa_kernel
	.section	.text._ZL9mul_mat_fI7__half2Li64ELi3ELi4ELb0EEvPKT_PKfPKiPfiiiiiiiiiiiiiiii,"axG",@progbits,_ZL9mul_mat_fI7__half2Li64ELi3ELi4ELb0EEvPKT_PKfPKiPfiiiiiiiiiiiiiiii,comdat
.Lfunc_end110:
	.size	_ZL9mul_mat_fI7__half2Li64ELi3ELi4ELb0EEvPKT_PKfPKiPfiiiiiiiiiiiiiiii, .Lfunc_end110-_ZL9mul_mat_fI7__half2Li64ELi3ELi4ELb0EEvPKT_PKfPKiPfiiiiiiiiiiiiiiii
                                        ; -- End function
	.set _ZL9mul_mat_fI7__half2Li64ELi3ELi4ELb0EEvPKT_PKfPKiPfiiiiiiiiiiiiiiii.num_vgpr, max(3, .L_ZL14no_device_codePKciS0_iS0_.num_vgpr)
	.set _ZL9mul_mat_fI7__half2Li64ELi3ELi4ELb0EEvPKT_PKfPKiPfiiiiiiiiiiiiiiii.num_agpr, max(0, .L_ZL14no_device_codePKciS0_iS0_.num_agpr)
	.set _ZL9mul_mat_fI7__half2Li64ELi3ELi4ELb0EEvPKT_PKfPKiPfiiiiiiiiiiiiiiii.numbered_sgpr, max(33, .L_ZL14no_device_codePKciS0_iS0_.numbered_sgpr)
	.set _ZL9mul_mat_fI7__half2Li64ELi3ELi4ELb0EEvPKT_PKfPKiPfiiiiiiiiiiiiiiii.num_named_barrier, max(0, .L_ZL14no_device_codePKciS0_iS0_.num_named_barrier)
	.set _ZL9mul_mat_fI7__half2Li64ELi3ELi4ELb0EEvPKT_PKfPKiPfiiiiiiiiiiiiiiii.private_seg_size, 0+max(.L_ZL14no_device_codePKciS0_iS0_.private_seg_size)
	.set _ZL9mul_mat_fI7__half2Li64ELi3ELi4ELb0EEvPKT_PKfPKiPfiiiiiiiiiiiiiiii.uses_vcc, or(1, .L_ZL14no_device_codePKciS0_iS0_.uses_vcc)
	.set _ZL9mul_mat_fI7__half2Li64ELi3ELi4ELb0EEvPKT_PKfPKiPfiiiiiiiiiiiiiiii.uses_flat_scratch, or(0, .L_ZL14no_device_codePKciS0_iS0_.uses_flat_scratch)
	.set _ZL9mul_mat_fI7__half2Li64ELi3ELi4ELb0EEvPKT_PKfPKiPfiiiiiiiiiiiiiiii.has_dyn_sized_stack, or(0, .L_ZL14no_device_codePKciS0_iS0_.has_dyn_sized_stack)
	.set _ZL9mul_mat_fI7__half2Li64ELi3ELi4ELb0EEvPKT_PKfPKiPfiiiiiiiiiiiiiiii.has_recursion, or(0, .L_ZL14no_device_codePKciS0_iS0_.has_recursion)
	.set _ZL9mul_mat_fI7__half2Li64ELi3ELi4ELb0EEvPKT_PKfPKiPfiiiiiiiiiiiiiiii.has_indirect_call, or(0, .L_ZL14no_device_codePKciS0_iS0_.has_indirect_call)
	.section	.AMDGPU.csdata,"",@progbits
; Kernel info:
; codeLenInByte = 84
; TotalNumSgprs: 38
; NumVgprs: 38
; ScratchSize: 16
; MemoryBound: 0
; FloatMode: 240
; IeeeMode: 1
; LDSByteSize: 0 bytes/workgroup (compile time only)
; SGPRBlocks: 4
; VGPRBlocks: 9
; NumSGPRsForWavesPerEU: 38
; NumVGPRsForWavesPerEU: 38
; Occupancy: 6
; WaveLimiterHint : 1
; COMPUTE_PGM_RSRC2:SCRATCH_EN: 1
; COMPUTE_PGM_RSRC2:USER_SGPR: 6
; COMPUTE_PGM_RSRC2:TRAP_HANDLER: 0
; COMPUTE_PGM_RSRC2:TGID_X_EN: 1
; COMPUTE_PGM_RSRC2:TGID_Y_EN: 0
; COMPUTE_PGM_RSRC2:TGID_Z_EN: 0
; COMPUTE_PGM_RSRC2:TIDIG_COMP_CNT: 0
	.section	.text._ZL13mul_mat_f_idsI7__half2Li64ELi3ELi5EEvPKT_PKfPKiS7_S7_Pfiiiiiiiiiiiiii15HIP_vector_typeIjLj3EESA_,"axG",@progbits,_ZL13mul_mat_f_idsI7__half2Li64ELi3ELi5EEvPKT_PKfPKiS7_S7_Pfiiiiiiiiiiiiii15HIP_vector_typeIjLj3EESA_,comdat
	.globl	_ZL13mul_mat_f_idsI7__half2Li64ELi3ELi5EEvPKT_PKfPKiS7_S7_Pfiiiiiiiiiiiiii15HIP_vector_typeIjLj3EESA_ ; -- Begin function _ZL13mul_mat_f_idsI7__half2Li64ELi3ELi5EEvPKT_PKfPKiS7_S7_Pfiiiiiiiiiiiiii15HIP_vector_typeIjLj3EESA_
	.p2align	8
	.type	_ZL13mul_mat_f_idsI7__half2Li64ELi3ELi5EEvPKT_PKfPKiS7_S7_Pfiiiiiiiiiiiiii15HIP_vector_typeIjLj3EESA_,@function
_ZL13mul_mat_f_idsI7__half2Li64ELi3ELi5EEvPKT_PKfPKiS7_S7_Pfiiiiiiiiiiiiii15HIP_vector_typeIjLj3EESA_: ; @_ZL13mul_mat_f_idsI7__half2Li64ELi3ELi5EEvPKT_PKfPKiS7_S7_Pfiiiiiiiiiiiiii15HIP_vector_typeIjLj3EESA_
; %bb.0:
	s_add_u32 s0, s0, s7
	s_addc_u32 s1, s1, 0
	s_add_u32 s8, s4, 0x80
	s_addc_u32 s9, s5, 0
	s_getpc_b64 s[4:5]
	s_add_u32 s4, s4, __FUNCTION__._ZL13mul_mat_f_idsIfLi32ELi3ELi1EEvPKT_PKfPKiS6_S6_Pfiiiiiiiiiiiiii15HIP_vector_typeIjLj3EES9_@rel32@lo+4
	s_addc_u32 s5, s5, __FUNCTION__._ZL13mul_mat_f_idsIfLi32ELi3ELi1EEvPKT_PKfPKiS6_S6_Pfiiiiiiiiiiiiii15HIP_vector_typeIjLj3EES9_@rel32@hi+12
	s_getpc_b64 s[6:7]
	s_add_u32 s6, s6, _ZL14no_device_codePKciS0_iS0_@rel32@lo+4
	s_addc_u32 s7, s7, _ZL14no_device_codePKciS0_iS0_@rel32@hi+12
	v_mov_b32_e32 v0, 0x238
	v_mov_b32_e32 v1, s4
	v_mov_b32_e32 v2, s5
	s_mov_b32 s32, 0
	s_swappc_b64 s[30:31], s[6:7]
	.section	.rodata,"a",@progbits
	.p2align	6, 0x0
	.amdhsa_kernel _ZL13mul_mat_f_idsI7__half2Li64ELi3ELi5EEvPKT_PKfPKiS7_S7_Pfiiiiiiiiiiiiii15HIP_vector_typeIjLj3EESA_
		.amdhsa_group_segment_fixed_size 0
		.amdhsa_private_segment_fixed_size 16
		.amdhsa_kernarg_size 384
		.amdhsa_user_sgpr_count 6
		.amdhsa_user_sgpr_private_segment_buffer 1
		.amdhsa_user_sgpr_dispatch_ptr 0
		.amdhsa_user_sgpr_queue_ptr 0
		.amdhsa_user_sgpr_kernarg_segment_ptr 1
		.amdhsa_user_sgpr_dispatch_id 0
		.amdhsa_user_sgpr_flat_scratch_init 0
		.amdhsa_user_sgpr_private_segment_size 0
		.amdhsa_uses_dynamic_stack 0
		.amdhsa_system_sgpr_private_segment_wavefront_offset 1
		.amdhsa_system_sgpr_workgroup_id_x 1
		.amdhsa_system_sgpr_workgroup_id_y 0
		.amdhsa_system_sgpr_workgroup_id_z 0
		.amdhsa_system_sgpr_workgroup_info 0
		.amdhsa_system_vgpr_workitem_id 0
		.amdhsa_next_free_vgpr 38
		.amdhsa_next_free_sgpr 34
		.amdhsa_reserve_vcc 1
		.amdhsa_reserve_flat_scratch 0
		.amdhsa_float_round_mode_32 0
		.amdhsa_float_round_mode_16_64 0
		.amdhsa_float_denorm_mode_32 3
		.amdhsa_float_denorm_mode_16_64 3
		.amdhsa_dx10_clamp 1
		.amdhsa_ieee_mode 1
		.amdhsa_fp16_overflow 0
		.amdhsa_exception_fp_ieee_invalid_op 0
		.amdhsa_exception_fp_denorm_src 0
		.amdhsa_exception_fp_ieee_div_zero 0
		.amdhsa_exception_fp_ieee_overflow 0
		.amdhsa_exception_fp_ieee_underflow 0
		.amdhsa_exception_fp_ieee_inexact 0
		.amdhsa_exception_int_div_zero 0
	.end_amdhsa_kernel
	.section	.text._ZL13mul_mat_f_idsI7__half2Li64ELi3ELi5EEvPKT_PKfPKiS7_S7_Pfiiiiiiiiiiiiii15HIP_vector_typeIjLj3EESA_,"axG",@progbits,_ZL13mul_mat_f_idsI7__half2Li64ELi3ELi5EEvPKT_PKfPKiS7_S7_Pfiiiiiiiiiiiiii15HIP_vector_typeIjLj3EESA_,comdat
.Lfunc_end111:
	.size	_ZL13mul_mat_f_idsI7__half2Li64ELi3ELi5EEvPKT_PKfPKiS7_S7_Pfiiiiiiiiiiiiii15HIP_vector_typeIjLj3EESA_, .Lfunc_end111-_ZL13mul_mat_f_idsI7__half2Li64ELi3ELi5EEvPKT_PKfPKiS7_S7_Pfiiiiiiiiiiiiii15HIP_vector_typeIjLj3EESA_
                                        ; -- End function
	.set _ZL13mul_mat_f_idsI7__half2Li64ELi3ELi5EEvPKT_PKfPKiS7_S7_Pfiiiiiiiiiiiiii15HIP_vector_typeIjLj3EESA_.num_vgpr, max(3, .L_ZL14no_device_codePKciS0_iS0_.num_vgpr)
	.set _ZL13mul_mat_f_idsI7__half2Li64ELi3ELi5EEvPKT_PKfPKiS7_S7_Pfiiiiiiiiiiiiii15HIP_vector_typeIjLj3EESA_.num_agpr, max(0, .L_ZL14no_device_codePKciS0_iS0_.num_agpr)
	.set _ZL13mul_mat_f_idsI7__half2Li64ELi3ELi5EEvPKT_PKfPKiS7_S7_Pfiiiiiiiiiiiiii15HIP_vector_typeIjLj3EESA_.numbered_sgpr, max(33, .L_ZL14no_device_codePKciS0_iS0_.numbered_sgpr)
	.set _ZL13mul_mat_f_idsI7__half2Li64ELi3ELi5EEvPKT_PKfPKiS7_S7_Pfiiiiiiiiiiiiii15HIP_vector_typeIjLj3EESA_.num_named_barrier, max(0, .L_ZL14no_device_codePKciS0_iS0_.num_named_barrier)
	.set _ZL13mul_mat_f_idsI7__half2Li64ELi3ELi5EEvPKT_PKfPKiS7_S7_Pfiiiiiiiiiiiiii15HIP_vector_typeIjLj3EESA_.private_seg_size, 0+max(.L_ZL14no_device_codePKciS0_iS0_.private_seg_size)
	.set _ZL13mul_mat_f_idsI7__half2Li64ELi3ELi5EEvPKT_PKfPKiS7_S7_Pfiiiiiiiiiiiiii15HIP_vector_typeIjLj3EESA_.uses_vcc, or(1, .L_ZL14no_device_codePKciS0_iS0_.uses_vcc)
	.set _ZL13mul_mat_f_idsI7__half2Li64ELi3ELi5EEvPKT_PKfPKiS7_S7_Pfiiiiiiiiiiiiii15HIP_vector_typeIjLj3EESA_.uses_flat_scratch, or(0, .L_ZL14no_device_codePKciS0_iS0_.uses_flat_scratch)
	.set _ZL13mul_mat_f_idsI7__half2Li64ELi3ELi5EEvPKT_PKfPKiS7_S7_Pfiiiiiiiiiiiiii15HIP_vector_typeIjLj3EESA_.has_dyn_sized_stack, or(0, .L_ZL14no_device_codePKciS0_iS0_.has_dyn_sized_stack)
	.set _ZL13mul_mat_f_idsI7__half2Li64ELi3ELi5EEvPKT_PKfPKiS7_S7_Pfiiiiiiiiiiiiii15HIP_vector_typeIjLj3EESA_.has_recursion, or(0, .L_ZL14no_device_codePKciS0_iS0_.has_recursion)
	.set _ZL13mul_mat_f_idsI7__half2Li64ELi3ELi5EEvPKT_PKfPKiS7_S7_Pfiiiiiiiiiiiiii15HIP_vector_typeIjLj3EESA_.has_indirect_call, or(0, .L_ZL14no_device_codePKciS0_iS0_.has_indirect_call)
	.section	.AMDGPU.csdata,"",@progbits
; Kernel info:
; codeLenInByte = 84
; TotalNumSgprs: 38
; NumVgprs: 38
; ScratchSize: 16
; MemoryBound: 0
; FloatMode: 240
; IeeeMode: 1
; LDSByteSize: 0 bytes/workgroup (compile time only)
; SGPRBlocks: 4
; VGPRBlocks: 9
; NumSGPRsForWavesPerEU: 38
; NumVGPRsForWavesPerEU: 38
; Occupancy: 6
; WaveLimiterHint : 1
; COMPUTE_PGM_RSRC2:SCRATCH_EN: 1
; COMPUTE_PGM_RSRC2:USER_SGPR: 6
; COMPUTE_PGM_RSRC2:TRAP_HANDLER: 0
; COMPUTE_PGM_RSRC2:TGID_X_EN: 1
; COMPUTE_PGM_RSRC2:TGID_Y_EN: 0
; COMPUTE_PGM_RSRC2:TGID_Z_EN: 0
; COMPUTE_PGM_RSRC2:TIDIG_COMP_CNT: 0
	.section	.text._ZL9mul_mat_fI7__half2Li64ELi3ELi5ELb1EEvPKT_PKfPKiPfiiiiiiiiiiiiiiii,"axG",@progbits,_ZL9mul_mat_fI7__half2Li64ELi3ELi5ELb1EEvPKT_PKfPKiPfiiiiiiiiiiiiiiii,comdat
	.globl	_ZL9mul_mat_fI7__half2Li64ELi3ELi5ELb1EEvPKT_PKfPKiPfiiiiiiiiiiiiiiii ; -- Begin function _ZL9mul_mat_fI7__half2Li64ELi3ELi5ELb1EEvPKT_PKfPKiPfiiiiiiiiiiiiiiii
	.p2align	8
	.type	_ZL9mul_mat_fI7__half2Li64ELi3ELi5ELb1EEvPKT_PKfPKiPfiiiiiiiiiiiiiiii,@function
_ZL9mul_mat_fI7__half2Li64ELi3ELi5ELb1EEvPKT_PKfPKiPfiiiiiiiiiiiiiiii: ; @_ZL9mul_mat_fI7__half2Li64ELi3ELi5ELb1EEvPKT_PKfPKiPfiiiiiiiiiiiiiiii
; %bb.0:
	s_add_u32 s0, s0, s7
	s_addc_u32 s1, s1, 0
	s_add_u32 s8, s4, 0x60
	s_addc_u32 s9, s5, 0
	s_getpc_b64 s[4:5]
	s_add_u32 s4, s4, __FUNCTION__._ZL9mul_mat_fIfLi32ELi3ELi1ELb1EEvPKT_PKfPKiPfiiiiiiiiiiiiiiii@rel32@lo+4
	s_addc_u32 s5, s5, __FUNCTION__._ZL9mul_mat_fIfLi32ELi3ELi1ELb1EEvPKT_PKfPKiPfiiiiiiiiiiiiiiii@rel32@hi+12
	s_getpc_b64 s[6:7]
	s_add_u32 s6, s6, _ZL14no_device_codePKciS0_iS0_@rel32@lo+4
	s_addc_u32 s7, s7, _ZL14no_device_codePKciS0_iS0_@rel32@hi+12
	v_mov_b32_e32 v0, 0x124
	v_mov_b32_e32 v1, s4
	v_mov_b32_e32 v2, s5
	s_mov_b32 s32, 0
	s_swappc_b64 s[30:31], s[6:7]
	.section	.rodata,"a",@progbits
	.p2align	6, 0x0
	.amdhsa_kernel _ZL9mul_mat_fI7__half2Li64ELi3ELi5ELb1EEvPKT_PKfPKiPfiiiiiiiiiiiiiiii
		.amdhsa_group_segment_fixed_size 0
		.amdhsa_private_segment_fixed_size 16
		.amdhsa_kernarg_size 352
		.amdhsa_user_sgpr_count 6
		.amdhsa_user_sgpr_private_segment_buffer 1
		.amdhsa_user_sgpr_dispatch_ptr 0
		.amdhsa_user_sgpr_queue_ptr 0
		.amdhsa_user_sgpr_kernarg_segment_ptr 1
		.amdhsa_user_sgpr_dispatch_id 0
		.amdhsa_user_sgpr_flat_scratch_init 0
		.amdhsa_user_sgpr_private_segment_size 0
		.amdhsa_uses_dynamic_stack 0
		.amdhsa_system_sgpr_private_segment_wavefront_offset 1
		.amdhsa_system_sgpr_workgroup_id_x 1
		.amdhsa_system_sgpr_workgroup_id_y 0
		.amdhsa_system_sgpr_workgroup_id_z 0
		.amdhsa_system_sgpr_workgroup_info 0
		.amdhsa_system_vgpr_workitem_id 0
		.amdhsa_next_free_vgpr 38
		.amdhsa_next_free_sgpr 34
		.amdhsa_reserve_vcc 1
		.amdhsa_reserve_flat_scratch 0
		.amdhsa_float_round_mode_32 0
		.amdhsa_float_round_mode_16_64 0
		.amdhsa_float_denorm_mode_32 3
		.amdhsa_float_denorm_mode_16_64 3
		.amdhsa_dx10_clamp 1
		.amdhsa_ieee_mode 1
		.amdhsa_fp16_overflow 0
		.amdhsa_exception_fp_ieee_invalid_op 0
		.amdhsa_exception_fp_denorm_src 0
		.amdhsa_exception_fp_ieee_div_zero 0
		.amdhsa_exception_fp_ieee_overflow 0
		.amdhsa_exception_fp_ieee_underflow 0
		.amdhsa_exception_fp_ieee_inexact 0
		.amdhsa_exception_int_div_zero 0
	.end_amdhsa_kernel
	.section	.text._ZL9mul_mat_fI7__half2Li64ELi3ELi5ELb1EEvPKT_PKfPKiPfiiiiiiiiiiiiiiii,"axG",@progbits,_ZL9mul_mat_fI7__half2Li64ELi3ELi5ELb1EEvPKT_PKfPKiPfiiiiiiiiiiiiiiii,comdat
.Lfunc_end112:
	.size	_ZL9mul_mat_fI7__half2Li64ELi3ELi5ELb1EEvPKT_PKfPKiPfiiiiiiiiiiiiiiii, .Lfunc_end112-_ZL9mul_mat_fI7__half2Li64ELi3ELi5ELb1EEvPKT_PKfPKiPfiiiiiiiiiiiiiiii
                                        ; -- End function
	.set _ZL9mul_mat_fI7__half2Li64ELi3ELi5ELb1EEvPKT_PKfPKiPfiiiiiiiiiiiiiiii.num_vgpr, max(3, .L_ZL14no_device_codePKciS0_iS0_.num_vgpr)
	.set _ZL9mul_mat_fI7__half2Li64ELi3ELi5ELb1EEvPKT_PKfPKiPfiiiiiiiiiiiiiiii.num_agpr, max(0, .L_ZL14no_device_codePKciS0_iS0_.num_agpr)
	.set _ZL9mul_mat_fI7__half2Li64ELi3ELi5ELb1EEvPKT_PKfPKiPfiiiiiiiiiiiiiiii.numbered_sgpr, max(33, .L_ZL14no_device_codePKciS0_iS0_.numbered_sgpr)
	.set _ZL9mul_mat_fI7__half2Li64ELi3ELi5ELb1EEvPKT_PKfPKiPfiiiiiiiiiiiiiiii.num_named_barrier, max(0, .L_ZL14no_device_codePKciS0_iS0_.num_named_barrier)
	.set _ZL9mul_mat_fI7__half2Li64ELi3ELi5ELb1EEvPKT_PKfPKiPfiiiiiiiiiiiiiiii.private_seg_size, 0+max(.L_ZL14no_device_codePKciS0_iS0_.private_seg_size)
	.set _ZL9mul_mat_fI7__half2Li64ELi3ELi5ELb1EEvPKT_PKfPKiPfiiiiiiiiiiiiiiii.uses_vcc, or(1, .L_ZL14no_device_codePKciS0_iS0_.uses_vcc)
	.set _ZL9mul_mat_fI7__half2Li64ELi3ELi5ELb1EEvPKT_PKfPKiPfiiiiiiiiiiiiiiii.uses_flat_scratch, or(0, .L_ZL14no_device_codePKciS0_iS0_.uses_flat_scratch)
	.set _ZL9mul_mat_fI7__half2Li64ELi3ELi5ELb1EEvPKT_PKfPKiPfiiiiiiiiiiiiiiii.has_dyn_sized_stack, or(0, .L_ZL14no_device_codePKciS0_iS0_.has_dyn_sized_stack)
	.set _ZL9mul_mat_fI7__half2Li64ELi3ELi5ELb1EEvPKT_PKfPKiPfiiiiiiiiiiiiiiii.has_recursion, or(0, .L_ZL14no_device_codePKciS0_iS0_.has_recursion)
	.set _ZL9mul_mat_fI7__half2Li64ELi3ELi5ELb1EEvPKT_PKfPKiPfiiiiiiiiiiiiiiii.has_indirect_call, or(0, .L_ZL14no_device_codePKciS0_iS0_.has_indirect_call)
	.section	.AMDGPU.csdata,"",@progbits
; Kernel info:
; codeLenInByte = 84
; TotalNumSgprs: 38
; NumVgprs: 38
; ScratchSize: 16
; MemoryBound: 0
; FloatMode: 240
; IeeeMode: 1
; LDSByteSize: 0 bytes/workgroup (compile time only)
; SGPRBlocks: 4
; VGPRBlocks: 9
; NumSGPRsForWavesPerEU: 38
; NumVGPRsForWavesPerEU: 38
; Occupancy: 6
; WaveLimiterHint : 1
; COMPUTE_PGM_RSRC2:SCRATCH_EN: 1
; COMPUTE_PGM_RSRC2:USER_SGPR: 6
; COMPUTE_PGM_RSRC2:TRAP_HANDLER: 0
; COMPUTE_PGM_RSRC2:TGID_X_EN: 1
; COMPUTE_PGM_RSRC2:TGID_Y_EN: 0
; COMPUTE_PGM_RSRC2:TGID_Z_EN: 0
; COMPUTE_PGM_RSRC2:TIDIG_COMP_CNT: 0
	.section	.text._ZL9mul_mat_fI7__half2Li64ELi3ELi5ELb0EEvPKT_PKfPKiPfiiiiiiiiiiiiiiii,"axG",@progbits,_ZL9mul_mat_fI7__half2Li64ELi3ELi5ELb0EEvPKT_PKfPKiPfiiiiiiiiiiiiiiii,comdat
	.globl	_ZL9mul_mat_fI7__half2Li64ELi3ELi5ELb0EEvPKT_PKfPKiPfiiiiiiiiiiiiiiii ; -- Begin function _ZL9mul_mat_fI7__half2Li64ELi3ELi5ELb0EEvPKT_PKfPKiPfiiiiiiiiiiiiiiii
	.p2align	8
	.type	_ZL9mul_mat_fI7__half2Li64ELi3ELi5ELb0EEvPKT_PKfPKiPfiiiiiiiiiiiiiiii,@function
_ZL9mul_mat_fI7__half2Li64ELi3ELi5ELb0EEvPKT_PKfPKiPfiiiiiiiiiiiiiiii: ; @_ZL9mul_mat_fI7__half2Li64ELi3ELi5ELb0EEvPKT_PKfPKiPfiiiiiiiiiiiiiiii
; %bb.0:
	s_add_u32 s0, s0, s7
	s_addc_u32 s1, s1, 0
	s_add_u32 s8, s4, 0x60
	s_addc_u32 s9, s5, 0
	s_getpc_b64 s[4:5]
	s_add_u32 s4, s4, __FUNCTION__._ZL9mul_mat_fIfLi32ELi3ELi1ELb1EEvPKT_PKfPKiPfiiiiiiiiiiiiiiii@rel32@lo+4
	s_addc_u32 s5, s5, __FUNCTION__._ZL9mul_mat_fIfLi32ELi3ELi1ELb1EEvPKT_PKfPKiPfiiiiiiiiiiiiiiii@rel32@hi+12
	s_getpc_b64 s[6:7]
	s_add_u32 s6, s6, _ZL14no_device_codePKciS0_iS0_@rel32@lo+4
	s_addc_u32 s7, s7, _ZL14no_device_codePKciS0_iS0_@rel32@hi+12
	v_mov_b32_e32 v0, 0x124
	v_mov_b32_e32 v1, s4
	;; [unrolled: 1-line block ×3, first 2 shown]
	s_mov_b32 s32, 0
	s_swappc_b64 s[30:31], s[6:7]
	.section	.rodata,"a",@progbits
	.p2align	6, 0x0
	.amdhsa_kernel _ZL9mul_mat_fI7__half2Li64ELi3ELi5ELb0EEvPKT_PKfPKiPfiiiiiiiiiiiiiiii
		.amdhsa_group_segment_fixed_size 0
		.amdhsa_private_segment_fixed_size 16
		.amdhsa_kernarg_size 352
		.amdhsa_user_sgpr_count 6
		.amdhsa_user_sgpr_private_segment_buffer 1
		.amdhsa_user_sgpr_dispatch_ptr 0
		.amdhsa_user_sgpr_queue_ptr 0
		.amdhsa_user_sgpr_kernarg_segment_ptr 1
		.amdhsa_user_sgpr_dispatch_id 0
		.amdhsa_user_sgpr_flat_scratch_init 0
		.amdhsa_user_sgpr_private_segment_size 0
		.amdhsa_uses_dynamic_stack 0
		.amdhsa_system_sgpr_private_segment_wavefront_offset 1
		.amdhsa_system_sgpr_workgroup_id_x 1
		.amdhsa_system_sgpr_workgroup_id_y 0
		.amdhsa_system_sgpr_workgroup_id_z 0
		.amdhsa_system_sgpr_workgroup_info 0
		.amdhsa_system_vgpr_workitem_id 0
		.amdhsa_next_free_vgpr 38
		.amdhsa_next_free_sgpr 34
		.amdhsa_reserve_vcc 1
		.amdhsa_reserve_flat_scratch 0
		.amdhsa_float_round_mode_32 0
		.amdhsa_float_round_mode_16_64 0
		.amdhsa_float_denorm_mode_32 3
		.amdhsa_float_denorm_mode_16_64 3
		.amdhsa_dx10_clamp 1
		.amdhsa_ieee_mode 1
		.amdhsa_fp16_overflow 0
		.amdhsa_exception_fp_ieee_invalid_op 0
		.amdhsa_exception_fp_denorm_src 0
		.amdhsa_exception_fp_ieee_div_zero 0
		.amdhsa_exception_fp_ieee_overflow 0
		.amdhsa_exception_fp_ieee_underflow 0
		.amdhsa_exception_fp_ieee_inexact 0
		.amdhsa_exception_int_div_zero 0
	.end_amdhsa_kernel
	.section	.text._ZL9mul_mat_fI7__half2Li64ELi3ELi5ELb0EEvPKT_PKfPKiPfiiiiiiiiiiiiiiii,"axG",@progbits,_ZL9mul_mat_fI7__half2Li64ELi3ELi5ELb0EEvPKT_PKfPKiPfiiiiiiiiiiiiiiii,comdat
.Lfunc_end113:
	.size	_ZL9mul_mat_fI7__half2Li64ELi3ELi5ELb0EEvPKT_PKfPKiPfiiiiiiiiiiiiiiii, .Lfunc_end113-_ZL9mul_mat_fI7__half2Li64ELi3ELi5ELb0EEvPKT_PKfPKiPfiiiiiiiiiiiiiiii
                                        ; -- End function
	.set _ZL9mul_mat_fI7__half2Li64ELi3ELi5ELb0EEvPKT_PKfPKiPfiiiiiiiiiiiiiiii.num_vgpr, max(3, .L_ZL14no_device_codePKciS0_iS0_.num_vgpr)
	.set _ZL9mul_mat_fI7__half2Li64ELi3ELi5ELb0EEvPKT_PKfPKiPfiiiiiiiiiiiiiiii.num_agpr, max(0, .L_ZL14no_device_codePKciS0_iS0_.num_agpr)
	.set _ZL9mul_mat_fI7__half2Li64ELi3ELi5ELb0EEvPKT_PKfPKiPfiiiiiiiiiiiiiiii.numbered_sgpr, max(33, .L_ZL14no_device_codePKciS0_iS0_.numbered_sgpr)
	.set _ZL9mul_mat_fI7__half2Li64ELi3ELi5ELb0EEvPKT_PKfPKiPfiiiiiiiiiiiiiiii.num_named_barrier, max(0, .L_ZL14no_device_codePKciS0_iS0_.num_named_barrier)
	.set _ZL9mul_mat_fI7__half2Li64ELi3ELi5ELb0EEvPKT_PKfPKiPfiiiiiiiiiiiiiiii.private_seg_size, 0+max(.L_ZL14no_device_codePKciS0_iS0_.private_seg_size)
	.set _ZL9mul_mat_fI7__half2Li64ELi3ELi5ELb0EEvPKT_PKfPKiPfiiiiiiiiiiiiiiii.uses_vcc, or(1, .L_ZL14no_device_codePKciS0_iS0_.uses_vcc)
	.set _ZL9mul_mat_fI7__half2Li64ELi3ELi5ELb0EEvPKT_PKfPKiPfiiiiiiiiiiiiiiii.uses_flat_scratch, or(0, .L_ZL14no_device_codePKciS0_iS0_.uses_flat_scratch)
	.set _ZL9mul_mat_fI7__half2Li64ELi3ELi5ELb0EEvPKT_PKfPKiPfiiiiiiiiiiiiiiii.has_dyn_sized_stack, or(0, .L_ZL14no_device_codePKciS0_iS0_.has_dyn_sized_stack)
	.set _ZL9mul_mat_fI7__half2Li64ELi3ELi5ELb0EEvPKT_PKfPKiPfiiiiiiiiiiiiiiii.has_recursion, or(0, .L_ZL14no_device_codePKciS0_iS0_.has_recursion)
	.set _ZL9mul_mat_fI7__half2Li64ELi3ELi5ELb0EEvPKT_PKfPKiPfiiiiiiiiiiiiiiii.has_indirect_call, or(0, .L_ZL14no_device_codePKciS0_iS0_.has_indirect_call)
	.section	.AMDGPU.csdata,"",@progbits
; Kernel info:
; codeLenInByte = 84
; TotalNumSgprs: 38
; NumVgprs: 38
; ScratchSize: 16
; MemoryBound: 0
; FloatMode: 240
; IeeeMode: 1
; LDSByteSize: 0 bytes/workgroup (compile time only)
; SGPRBlocks: 4
; VGPRBlocks: 9
; NumSGPRsForWavesPerEU: 38
; NumVGPRsForWavesPerEU: 38
; Occupancy: 6
; WaveLimiterHint : 1
; COMPUTE_PGM_RSRC2:SCRATCH_EN: 1
; COMPUTE_PGM_RSRC2:USER_SGPR: 6
; COMPUTE_PGM_RSRC2:TRAP_HANDLER: 0
; COMPUTE_PGM_RSRC2:TGID_X_EN: 1
; COMPUTE_PGM_RSRC2:TGID_Y_EN: 0
; COMPUTE_PGM_RSRC2:TGID_Z_EN: 0
; COMPUTE_PGM_RSRC2:TIDIG_COMP_CNT: 0
	.section	.text._ZL13mul_mat_f_idsI7__half2Li64ELi3ELi6EEvPKT_PKfPKiS7_S7_Pfiiiiiiiiiiiiii15HIP_vector_typeIjLj3EESA_,"axG",@progbits,_ZL13mul_mat_f_idsI7__half2Li64ELi3ELi6EEvPKT_PKfPKiS7_S7_Pfiiiiiiiiiiiiii15HIP_vector_typeIjLj3EESA_,comdat
	.globl	_ZL13mul_mat_f_idsI7__half2Li64ELi3ELi6EEvPKT_PKfPKiS7_S7_Pfiiiiiiiiiiiiii15HIP_vector_typeIjLj3EESA_ ; -- Begin function _ZL13mul_mat_f_idsI7__half2Li64ELi3ELi6EEvPKT_PKfPKiS7_S7_Pfiiiiiiiiiiiiii15HIP_vector_typeIjLj3EESA_
	.p2align	8
	.type	_ZL13mul_mat_f_idsI7__half2Li64ELi3ELi6EEvPKT_PKfPKiS7_S7_Pfiiiiiiiiiiiiii15HIP_vector_typeIjLj3EESA_,@function
_ZL13mul_mat_f_idsI7__half2Li64ELi3ELi6EEvPKT_PKfPKiS7_S7_Pfiiiiiiiiiiiiii15HIP_vector_typeIjLj3EESA_: ; @_ZL13mul_mat_f_idsI7__half2Li64ELi3ELi6EEvPKT_PKfPKiS7_S7_Pfiiiiiiiiiiiiii15HIP_vector_typeIjLj3EESA_
; %bb.0:
	s_add_u32 s0, s0, s7
	s_addc_u32 s1, s1, 0
	s_add_u32 s8, s4, 0x80
	s_addc_u32 s9, s5, 0
	s_getpc_b64 s[4:5]
	s_add_u32 s4, s4, __FUNCTION__._ZL13mul_mat_f_idsIfLi32ELi3ELi1EEvPKT_PKfPKiS6_S6_Pfiiiiiiiiiiiiii15HIP_vector_typeIjLj3EES9_@rel32@lo+4
	s_addc_u32 s5, s5, __FUNCTION__._ZL13mul_mat_f_idsIfLi32ELi3ELi1EEvPKT_PKfPKiS6_S6_Pfiiiiiiiiiiiiii15HIP_vector_typeIjLj3EES9_@rel32@hi+12
	s_getpc_b64 s[6:7]
	s_add_u32 s6, s6, _ZL14no_device_codePKciS0_iS0_@rel32@lo+4
	s_addc_u32 s7, s7, _ZL14no_device_codePKciS0_iS0_@rel32@hi+12
	v_mov_b32_e32 v0, 0x238
	v_mov_b32_e32 v1, s4
	;; [unrolled: 1-line block ×3, first 2 shown]
	s_mov_b32 s32, 0
	s_swappc_b64 s[30:31], s[6:7]
	.section	.rodata,"a",@progbits
	.p2align	6, 0x0
	.amdhsa_kernel _ZL13mul_mat_f_idsI7__half2Li64ELi3ELi6EEvPKT_PKfPKiS7_S7_Pfiiiiiiiiiiiiii15HIP_vector_typeIjLj3EESA_
		.amdhsa_group_segment_fixed_size 0
		.amdhsa_private_segment_fixed_size 16
		.amdhsa_kernarg_size 384
		.amdhsa_user_sgpr_count 6
		.amdhsa_user_sgpr_private_segment_buffer 1
		.amdhsa_user_sgpr_dispatch_ptr 0
		.amdhsa_user_sgpr_queue_ptr 0
		.amdhsa_user_sgpr_kernarg_segment_ptr 1
		.amdhsa_user_sgpr_dispatch_id 0
		.amdhsa_user_sgpr_flat_scratch_init 0
		.amdhsa_user_sgpr_private_segment_size 0
		.amdhsa_uses_dynamic_stack 0
		.amdhsa_system_sgpr_private_segment_wavefront_offset 1
		.amdhsa_system_sgpr_workgroup_id_x 1
		.amdhsa_system_sgpr_workgroup_id_y 0
		.amdhsa_system_sgpr_workgroup_id_z 0
		.amdhsa_system_sgpr_workgroup_info 0
		.amdhsa_system_vgpr_workitem_id 0
		.amdhsa_next_free_vgpr 38
		.amdhsa_next_free_sgpr 34
		.amdhsa_reserve_vcc 1
		.amdhsa_reserve_flat_scratch 0
		.amdhsa_float_round_mode_32 0
		.amdhsa_float_round_mode_16_64 0
		.amdhsa_float_denorm_mode_32 3
		.amdhsa_float_denorm_mode_16_64 3
		.amdhsa_dx10_clamp 1
		.amdhsa_ieee_mode 1
		.amdhsa_fp16_overflow 0
		.amdhsa_exception_fp_ieee_invalid_op 0
		.amdhsa_exception_fp_denorm_src 0
		.amdhsa_exception_fp_ieee_div_zero 0
		.amdhsa_exception_fp_ieee_overflow 0
		.amdhsa_exception_fp_ieee_underflow 0
		.amdhsa_exception_fp_ieee_inexact 0
		.amdhsa_exception_int_div_zero 0
	.end_amdhsa_kernel
	.section	.text._ZL13mul_mat_f_idsI7__half2Li64ELi3ELi6EEvPKT_PKfPKiS7_S7_Pfiiiiiiiiiiiiii15HIP_vector_typeIjLj3EESA_,"axG",@progbits,_ZL13mul_mat_f_idsI7__half2Li64ELi3ELi6EEvPKT_PKfPKiS7_S7_Pfiiiiiiiiiiiiii15HIP_vector_typeIjLj3EESA_,comdat
.Lfunc_end114:
	.size	_ZL13mul_mat_f_idsI7__half2Li64ELi3ELi6EEvPKT_PKfPKiS7_S7_Pfiiiiiiiiiiiiii15HIP_vector_typeIjLj3EESA_, .Lfunc_end114-_ZL13mul_mat_f_idsI7__half2Li64ELi3ELi6EEvPKT_PKfPKiS7_S7_Pfiiiiiiiiiiiiii15HIP_vector_typeIjLj3EESA_
                                        ; -- End function
	.set _ZL13mul_mat_f_idsI7__half2Li64ELi3ELi6EEvPKT_PKfPKiS7_S7_Pfiiiiiiiiiiiiii15HIP_vector_typeIjLj3EESA_.num_vgpr, max(3, .L_ZL14no_device_codePKciS0_iS0_.num_vgpr)
	.set _ZL13mul_mat_f_idsI7__half2Li64ELi3ELi6EEvPKT_PKfPKiS7_S7_Pfiiiiiiiiiiiiii15HIP_vector_typeIjLj3EESA_.num_agpr, max(0, .L_ZL14no_device_codePKciS0_iS0_.num_agpr)
	.set _ZL13mul_mat_f_idsI7__half2Li64ELi3ELi6EEvPKT_PKfPKiS7_S7_Pfiiiiiiiiiiiiii15HIP_vector_typeIjLj3EESA_.numbered_sgpr, max(33, .L_ZL14no_device_codePKciS0_iS0_.numbered_sgpr)
	.set _ZL13mul_mat_f_idsI7__half2Li64ELi3ELi6EEvPKT_PKfPKiS7_S7_Pfiiiiiiiiiiiiii15HIP_vector_typeIjLj3EESA_.num_named_barrier, max(0, .L_ZL14no_device_codePKciS0_iS0_.num_named_barrier)
	.set _ZL13mul_mat_f_idsI7__half2Li64ELi3ELi6EEvPKT_PKfPKiS7_S7_Pfiiiiiiiiiiiiii15HIP_vector_typeIjLj3EESA_.private_seg_size, 0+max(.L_ZL14no_device_codePKciS0_iS0_.private_seg_size)
	.set _ZL13mul_mat_f_idsI7__half2Li64ELi3ELi6EEvPKT_PKfPKiS7_S7_Pfiiiiiiiiiiiiii15HIP_vector_typeIjLj3EESA_.uses_vcc, or(1, .L_ZL14no_device_codePKciS0_iS0_.uses_vcc)
	.set _ZL13mul_mat_f_idsI7__half2Li64ELi3ELi6EEvPKT_PKfPKiS7_S7_Pfiiiiiiiiiiiiii15HIP_vector_typeIjLj3EESA_.uses_flat_scratch, or(0, .L_ZL14no_device_codePKciS0_iS0_.uses_flat_scratch)
	.set _ZL13mul_mat_f_idsI7__half2Li64ELi3ELi6EEvPKT_PKfPKiS7_S7_Pfiiiiiiiiiiiiii15HIP_vector_typeIjLj3EESA_.has_dyn_sized_stack, or(0, .L_ZL14no_device_codePKciS0_iS0_.has_dyn_sized_stack)
	.set _ZL13mul_mat_f_idsI7__half2Li64ELi3ELi6EEvPKT_PKfPKiS7_S7_Pfiiiiiiiiiiiiii15HIP_vector_typeIjLj3EESA_.has_recursion, or(0, .L_ZL14no_device_codePKciS0_iS0_.has_recursion)
	.set _ZL13mul_mat_f_idsI7__half2Li64ELi3ELi6EEvPKT_PKfPKiS7_S7_Pfiiiiiiiiiiiiii15HIP_vector_typeIjLj3EESA_.has_indirect_call, or(0, .L_ZL14no_device_codePKciS0_iS0_.has_indirect_call)
	.section	.AMDGPU.csdata,"",@progbits
; Kernel info:
; codeLenInByte = 84
; TotalNumSgprs: 38
; NumVgprs: 38
; ScratchSize: 16
; MemoryBound: 0
; FloatMode: 240
; IeeeMode: 1
; LDSByteSize: 0 bytes/workgroup (compile time only)
; SGPRBlocks: 4
; VGPRBlocks: 9
; NumSGPRsForWavesPerEU: 38
; NumVGPRsForWavesPerEU: 38
; Occupancy: 6
; WaveLimiterHint : 1
; COMPUTE_PGM_RSRC2:SCRATCH_EN: 1
; COMPUTE_PGM_RSRC2:USER_SGPR: 6
; COMPUTE_PGM_RSRC2:TRAP_HANDLER: 0
; COMPUTE_PGM_RSRC2:TGID_X_EN: 1
; COMPUTE_PGM_RSRC2:TGID_Y_EN: 0
; COMPUTE_PGM_RSRC2:TGID_Z_EN: 0
; COMPUTE_PGM_RSRC2:TIDIG_COMP_CNT: 0
	.section	.text._ZL9mul_mat_fI7__half2Li64ELi3ELi6ELb1EEvPKT_PKfPKiPfiiiiiiiiiiiiiiii,"axG",@progbits,_ZL9mul_mat_fI7__half2Li64ELi3ELi6ELb1EEvPKT_PKfPKiPfiiiiiiiiiiiiiiii,comdat
	.globl	_ZL9mul_mat_fI7__half2Li64ELi3ELi6ELb1EEvPKT_PKfPKiPfiiiiiiiiiiiiiiii ; -- Begin function _ZL9mul_mat_fI7__half2Li64ELi3ELi6ELb1EEvPKT_PKfPKiPfiiiiiiiiiiiiiiii
	.p2align	8
	.type	_ZL9mul_mat_fI7__half2Li64ELi3ELi6ELb1EEvPKT_PKfPKiPfiiiiiiiiiiiiiiii,@function
_ZL9mul_mat_fI7__half2Li64ELi3ELi6ELb1EEvPKT_PKfPKiPfiiiiiiiiiiiiiiii: ; @_ZL9mul_mat_fI7__half2Li64ELi3ELi6ELb1EEvPKT_PKfPKiPfiiiiiiiiiiiiiiii
; %bb.0:
	s_add_u32 s0, s0, s7
	s_addc_u32 s1, s1, 0
	s_add_u32 s8, s4, 0x60
	s_addc_u32 s9, s5, 0
	s_getpc_b64 s[4:5]
	s_add_u32 s4, s4, __FUNCTION__._ZL9mul_mat_fIfLi32ELi3ELi1ELb1EEvPKT_PKfPKiPfiiiiiiiiiiiiiiii@rel32@lo+4
	s_addc_u32 s5, s5, __FUNCTION__._ZL9mul_mat_fIfLi32ELi3ELi1ELb1EEvPKT_PKfPKiPfiiiiiiiiiiiiiiii@rel32@hi+12
	s_getpc_b64 s[6:7]
	s_add_u32 s6, s6, _ZL14no_device_codePKciS0_iS0_@rel32@lo+4
	s_addc_u32 s7, s7, _ZL14no_device_codePKciS0_iS0_@rel32@hi+12
	v_mov_b32_e32 v0, 0x124
	v_mov_b32_e32 v1, s4
	;; [unrolled: 1-line block ×3, first 2 shown]
	s_mov_b32 s32, 0
	s_swappc_b64 s[30:31], s[6:7]
	.section	.rodata,"a",@progbits
	.p2align	6, 0x0
	.amdhsa_kernel _ZL9mul_mat_fI7__half2Li64ELi3ELi6ELb1EEvPKT_PKfPKiPfiiiiiiiiiiiiiiii
		.amdhsa_group_segment_fixed_size 0
		.amdhsa_private_segment_fixed_size 16
		.amdhsa_kernarg_size 352
		.amdhsa_user_sgpr_count 6
		.amdhsa_user_sgpr_private_segment_buffer 1
		.amdhsa_user_sgpr_dispatch_ptr 0
		.amdhsa_user_sgpr_queue_ptr 0
		.amdhsa_user_sgpr_kernarg_segment_ptr 1
		.amdhsa_user_sgpr_dispatch_id 0
		.amdhsa_user_sgpr_flat_scratch_init 0
		.amdhsa_user_sgpr_private_segment_size 0
		.amdhsa_uses_dynamic_stack 0
		.amdhsa_system_sgpr_private_segment_wavefront_offset 1
		.amdhsa_system_sgpr_workgroup_id_x 1
		.amdhsa_system_sgpr_workgroup_id_y 0
		.amdhsa_system_sgpr_workgroup_id_z 0
		.amdhsa_system_sgpr_workgroup_info 0
		.amdhsa_system_vgpr_workitem_id 0
		.amdhsa_next_free_vgpr 38
		.amdhsa_next_free_sgpr 34
		.amdhsa_reserve_vcc 1
		.amdhsa_reserve_flat_scratch 0
		.amdhsa_float_round_mode_32 0
		.amdhsa_float_round_mode_16_64 0
		.amdhsa_float_denorm_mode_32 3
		.amdhsa_float_denorm_mode_16_64 3
		.amdhsa_dx10_clamp 1
		.amdhsa_ieee_mode 1
		.amdhsa_fp16_overflow 0
		.amdhsa_exception_fp_ieee_invalid_op 0
		.amdhsa_exception_fp_denorm_src 0
		.amdhsa_exception_fp_ieee_div_zero 0
		.amdhsa_exception_fp_ieee_overflow 0
		.amdhsa_exception_fp_ieee_underflow 0
		.amdhsa_exception_fp_ieee_inexact 0
		.amdhsa_exception_int_div_zero 0
	.end_amdhsa_kernel
	.section	.text._ZL9mul_mat_fI7__half2Li64ELi3ELi6ELb1EEvPKT_PKfPKiPfiiiiiiiiiiiiiiii,"axG",@progbits,_ZL9mul_mat_fI7__half2Li64ELi3ELi6ELb1EEvPKT_PKfPKiPfiiiiiiiiiiiiiiii,comdat
.Lfunc_end115:
	.size	_ZL9mul_mat_fI7__half2Li64ELi3ELi6ELb1EEvPKT_PKfPKiPfiiiiiiiiiiiiiiii, .Lfunc_end115-_ZL9mul_mat_fI7__half2Li64ELi3ELi6ELb1EEvPKT_PKfPKiPfiiiiiiiiiiiiiiii
                                        ; -- End function
	.set _ZL9mul_mat_fI7__half2Li64ELi3ELi6ELb1EEvPKT_PKfPKiPfiiiiiiiiiiiiiiii.num_vgpr, max(3, .L_ZL14no_device_codePKciS0_iS0_.num_vgpr)
	.set _ZL9mul_mat_fI7__half2Li64ELi3ELi6ELb1EEvPKT_PKfPKiPfiiiiiiiiiiiiiiii.num_agpr, max(0, .L_ZL14no_device_codePKciS0_iS0_.num_agpr)
	.set _ZL9mul_mat_fI7__half2Li64ELi3ELi6ELb1EEvPKT_PKfPKiPfiiiiiiiiiiiiiiii.numbered_sgpr, max(33, .L_ZL14no_device_codePKciS0_iS0_.numbered_sgpr)
	.set _ZL9mul_mat_fI7__half2Li64ELi3ELi6ELb1EEvPKT_PKfPKiPfiiiiiiiiiiiiiiii.num_named_barrier, max(0, .L_ZL14no_device_codePKciS0_iS0_.num_named_barrier)
	.set _ZL9mul_mat_fI7__half2Li64ELi3ELi6ELb1EEvPKT_PKfPKiPfiiiiiiiiiiiiiiii.private_seg_size, 0+max(.L_ZL14no_device_codePKciS0_iS0_.private_seg_size)
	.set _ZL9mul_mat_fI7__half2Li64ELi3ELi6ELb1EEvPKT_PKfPKiPfiiiiiiiiiiiiiiii.uses_vcc, or(1, .L_ZL14no_device_codePKciS0_iS0_.uses_vcc)
	.set _ZL9mul_mat_fI7__half2Li64ELi3ELi6ELb1EEvPKT_PKfPKiPfiiiiiiiiiiiiiiii.uses_flat_scratch, or(0, .L_ZL14no_device_codePKciS0_iS0_.uses_flat_scratch)
	.set _ZL9mul_mat_fI7__half2Li64ELi3ELi6ELb1EEvPKT_PKfPKiPfiiiiiiiiiiiiiiii.has_dyn_sized_stack, or(0, .L_ZL14no_device_codePKciS0_iS0_.has_dyn_sized_stack)
	.set _ZL9mul_mat_fI7__half2Li64ELi3ELi6ELb1EEvPKT_PKfPKiPfiiiiiiiiiiiiiiii.has_recursion, or(0, .L_ZL14no_device_codePKciS0_iS0_.has_recursion)
	.set _ZL9mul_mat_fI7__half2Li64ELi3ELi6ELb1EEvPKT_PKfPKiPfiiiiiiiiiiiiiiii.has_indirect_call, or(0, .L_ZL14no_device_codePKciS0_iS0_.has_indirect_call)
	.section	.AMDGPU.csdata,"",@progbits
; Kernel info:
; codeLenInByte = 84
; TotalNumSgprs: 38
; NumVgprs: 38
; ScratchSize: 16
; MemoryBound: 0
; FloatMode: 240
; IeeeMode: 1
; LDSByteSize: 0 bytes/workgroup (compile time only)
; SGPRBlocks: 4
; VGPRBlocks: 9
; NumSGPRsForWavesPerEU: 38
; NumVGPRsForWavesPerEU: 38
; Occupancy: 6
; WaveLimiterHint : 1
; COMPUTE_PGM_RSRC2:SCRATCH_EN: 1
; COMPUTE_PGM_RSRC2:USER_SGPR: 6
; COMPUTE_PGM_RSRC2:TRAP_HANDLER: 0
; COMPUTE_PGM_RSRC2:TGID_X_EN: 1
; COMPUTE_PGM_RSRC2:TGID_Y_EN: 0
; COMPUTE_PGM_RSRC2:TGID_Z_EN: 0
; COMPUTE_PGM_RSRC2:TIDIG_COMP_CNT: 0
	.section	.text._ZL9mul_mat_fI7__half2Li64ELi3ELi6ELb0EEvPKT_PKfPKiPfiiiiiiiiiiiiiiii,"axG",@progbits,_ZL9mul_mat_fI7__half2Li64ELi3ELi6ELb0EEvPKT_PKfPKiPfiiiiiiiiiiiiiiii,comdat
	.globl	_ZL9mul_mat_fI7__half2Li64ELi3ELi6ELb0EEvPKT_PKfPKiPfiiiiiiiiiiiiiiii ; -- Begin function _ZL9mul_mat_fI7__half2Li64ELi3ELi6ELb0EEvPKT_PKfPKiPfiiiiiiiiiiiiiiii
	.p2align	8
	.type	_ZL9mul_mat_fI7__half2Li64ELi3ELi6ELb0EEvPKT_PKfPKiPfiiiiiiiiiiiiiiii,@function
_ZL9mul_mat_fI7__half2Li64ELi3ELi6ELb0EEvPKT_PKfPKiPfiiiiiiiiiiiiiiii: ; @_ZL9mul_mat_fI7__half2Li64ELi3ELi6ELb0EEvPKT_PKfPKiPfiiiiiiiiiiiiiiii
; %bb.0:
	s_add_u32 s0, s0, s7
	s_addc_u32 s1, s1, 0
	s_add_u32 s8, s4, 0x60
	s_addc_u32 s9, s5, 0
	s_getpc_b64 s[4:5]
	s_add_u32 s4, s4, __FUNCTION__._ZL9mul_mat_fIfLi32ELi3ELi1ELb1EEvPKT_PKfPKiPfiiiiiiiiiiiiiiii@rel32@lo+4
	s_addc_u32 s5, s5, __FUNCTION__._ZL9mul_mat_fIfLi32ELi3ELi1ELb1EEvPKT_PKfPKiPfiiiiiiiiiiiiiiii@rel32@hi+12
	s_getpc_b64 s[6:7]
	s_add_u32 s6, s6, _ZL14no_device_codePKciS0_iS0_@rel32@lo+4
	s_addc_u32 s7, s7, _ZL14no_device_codePKciS0_iS0_@rel32@hi+12
	v_mov_b32_e32 v0, 0x124
	v_mov_b32_e32 v1, s4
	;; [unrolled: 1-line block ×3, first 2 shown]
	s_mov_b32 s32, 0
	s_swappc_b64 s[30:31], s[6:7]
	.section	.rodata,"a",@progbits
	.p2align	6, 0x0
	.amdhsa_kernel _ZL9mul_mat_fI7__half2Li64ELi3ELi6ELb0EEvPKT_PKfPKiPfiiiiiiiiiiiiiiii
		.amdhsa_group_segment_fixed_size 0
		.amdhsa_private_segment_fixed_size 16
		.amdhsa_kernarg_size 352
		.amdhsa_user_sgpr_count 6
		.amdhsa_user_sgpr_private_segment_buffer 1
		.amdhsa_user_sgpr_dispatch_ptr 0
		.amdhsa_user_sgpr_queue_ptr 0
		.amdhsa_user_sgpr_kernarg_segment_ptr 1
		.amdhsa_user_sgpr_dispatch_id 0
		.amdhsa_user_sgpr_flat_scratch_init 0
		.amdhsa_user_sgpr_private_segment_size 0
		.amdhsa_uses_dynamic_stack 0
		.amdhsa_system_sgpr_private_segment_wavefront_offset 1
		.amdhsa_system_sgpr_workgroup_id_x 1
		.amdhsa_system_sgpr_workgroup_id_y 0
		.amdhsa_system_sgpr_workgroup_id_z 0
		.amdhsa_system_sgpr_workgroup_info 0
		.amdhsa_system_vgpr_workitem_id 0
		.amdhsa_next_free_vgpr 38
		.amdhsa_next_free_sgpr 34
		.amdhsa_reserve_vcc 1
		.amdhsa_reserve_flat_scratch 0
		.amdhsa_float_round_mode_32 0
		.amdhsa_float_round_mode_16_64 0
		.amdhsa_float_denorm_mode_32 3
		.amdhsa_float_denorm_mode_16_64 3
		.amdhsa_dx10_clamp 1
		.amdhsa_ieee_mode 1
		.amdhsa_fp16_overflow 0
		.amdhsa_exception_fp_ieee_invalid_op 0
		.amdhsa_exception_fp_denorm_src 0
		.amdhsa_exception_fp_ieee_div_zero 0
		.amdhsa_exception_fp_ieee_overflow 0
		.amdhsa_exception_fp_ieee_underflow 0
		.amdhsa_exception_fp_ieee_inexact 0
		.amdhsa_exception_int_div_zero 0
	.end_amdhsa_kernel
	.section	.text._ZL9mul_mat_fI7__half2Li64ELi3ELi6ELb0EEvPKT_PKfPKiPfiiiiiiiiiiiiiiii,"axG",@progbits,_ZL9mul_mat_fI7__half2Li64ELi3ELi6ELb0EEvPKT_PKfPKiPfiiiiiiiiiiiiiiii,comdat
.Lfunc_end116:
	.size	_ZL9mul_mat_fI7__half2Li64ELi3ELi6ELb0EEvPKT_PKfPKiPfiiiiiiiiiiiiiiii, .Lfunc_end116-_ZL9mul_mat_fI7__half2Li64ELi3ELi6ELb0EEvPKT_PKfPKiPfiiiiiiiiiiiiiiii
                                        ; -- End function
	.set _ZL9mul_mat_fI7__half2Li64ELi3ELi6ELb0EEvPKT_PKfPKiPfiiiiiiiiiiiiiiii.num_vgpr, max(3, .L_ZL14no_device_codePKciS0_iS0_.num_vgpr)
	.set _ZL9mul_mat_fI7__half2Li64ELi3ELi6ELb0EEvPKT_PKfPKiPfiiiiiiiiiiiiiiii.num_agpr, max(0, .L_ZL14no_device_codePKciS0_iS0_.num_agpr)
	.set _ZL9mul_mat_fI7__half2Li64ELi3ELi6ELb0EEvPKT_PKfPKiPfiiiiiiiiiiiiiiii.numbered_sgpr, max(33, .L_ZL14no_device_codePKciS0_iS0_.numbered_sgpr)
	.set _ZL9mul_mat_fI7__half2Li64ELi3ELi6ELb0EEvPKT_PKfPKiPfiiiiiiiiiiiiiiii.num_named_barrier, max(0, .L_ZL14no_device_codePKciS0_iS0_.num_named_barrier)
	.set _ZL9mul_mat_fI7__half2Li64ELi3ELi6ELb0EEvPKT_PKfPKiPfiiiiiiiiiiiiiiii.private_seg_size, 0+max(.L_ZL14no_device_codePKciS0_iS0_.private_seg_size)
	.set _ZL9mul_mat_fI7__half2Li64ELi3ELi6ELb0EEvPKT_PKfPKiPfiiiiiiiiiiiiiiii.uses_vcc, or(1, .L_ZL14no_device_codePKciS0_iS0_.uses_vcc)
	.set _ZL9mul_mat_fI7__half2Li64ELi3ELi6ELb0EEvPKT_PKfPKiPfiiiiiiiiiiiiiiii.uses_flat_scratch, or(0, .L_ZL14no_device_codePKciS0_iS0_.uses_flat_scratch)
	.set _ZL9mul_mat_fI7__half2Li64ELi3ELi6ELb0EEvPKT_PKfPKiPfiiiiiiiiiiiiiiii.has_dyn_sized_stack, or(0, .L_ZL14no_device_codePKciS0_iS0_.has_dyn_sized_stack)
	.set _ZL9mul_mat_fI7__half2Li64ELi3ELi6ELb0EEvPKT_PKfPKiPfiiiiiiiiiiiiiiii.has_recursion, or(0, .L_ZL14no_device_codePKciS0_iS0_.has_recursion)
	.set _ZL9mul_mat_fI7__half2Li64ELi3ELi6ELb0EEvPKT_PKfPKiPfiiiiiiiiiiiiiiii.has_indirect_call, or(0, .L_ZL14no_device_codePKciS0_iS0_.has_indirect_call)
	.section	.AMDGPU.csdata,"",@progbits
; Kernel info:
; codeLenInByte = 84
; TotalNumSgprs: 38
; NumVgprs: 38
; ScratchSize: 16
; MemoryBound: 0
; FloatMode: 240
; IeeeMode: 1
; LDSByteSize: 0 bytes/workgroup (compile time only)
; SGPRBlocks: 4
; VGPRBlocks: 9
; NumSGPRsForWavesPerEU: 38
; NumVGPRsForWavesPerEU: 38
; Occupancy: 6
; WaveLimiterHint : 1
; COMPUTE_PGM_RSRC2:SCRATCH_EN: 1
; COMPUTE_PGM_RSRC2:USER_SGPR: 6
; COMPUTE_PGM_RSRC2:TRAP_HANDLER: 0
; COMPUTE_PGM_RSRC2:TGID_X_EN: 1
; COMPUTE_PGM_RSRC2:TGID_Y_EN: 0
; COMPUTE_PGM_RSRC2:TGID_Z_EN: 0
; COMPUTE_PGM_RSRC2:TIDIG_COMP_CNT: 0
	.section	.text._ZL13mul_mat_f_idsI7__half2Li64ELi3ELi7EEvPKT_PKfPKiS7_S7_Pfiiiiiiiiiiiiii15HIP_vector_typeIjLj3EESA_,"axG",@progbits,_ZL13mul_mat_f_idsI7__half2Li64ELi3ELi7EEvPKT_PKfPKiS7_S7_Pfiiiiiiiiiiiiii15HIP_vector_typeIjLj3EESA_,comdat
	.globl	_ZL13mul_mat_f_idsI7__half2Li64ELi3ELi7EEvPKT_PKfPKiS7_S7_Pfiiiiiiiiiiiiii15HIP_vector_typeIjLj3EESA_ ; -- Begin function _ZL13mul_mat_f_idsI7__half2Li64ELi3ELi7EEvPKT_PKfPKiS7_S7_Pfiiiiiiiiiiiiii15HIP_vector_typeIjLj3EESA_
	.p2align	8
	.type	_ZL13mul_mat_f_idsI7__half2Li64ELi3ELi7EEvPKT_PKfPKiS7_S7_Pfiiiiiiiiiiiiii15HIP_vector_typeIjLj3EESA_,@function
_ZL13mul_mat_f_idsI7__half2Li64ELi3ELi7EEvPKT_PKfPKiS7_S7_Pfiiiiiiiiiiiiii15HIP_vector_typeIjLj3EESA_: ; @_ZL13mul_mat_f_idsI7__half2Li64ELi3ELi7EEvPKT_PKfPKiS7_S7_Pfiiiiiiiiiiiiii15HIP_vector_typeIjLj3EESA_
; %bb.0:
	s_add_u32 s0, s0, s7
	s_addc_u32 s1, s1, 0
	s_add_u32 s8, s4, 0x80
	s_addc_u32 s9, s5, 0
	s_getpc_b64 s[4:5]
	s_add_u32 s4, s4, __FUNCTION__._ZL13mul_mat_f_idsIfLi32ELi3ELi1EEvPKT_PKfPKiS6_S6_Pfiiiiiiiiiiiiii15HIP_vector_typeIjLj3EES9_@rel32@lo+4
	s_addc_u32 s5, s5, __FUNCTION__._ZL13mul_mat_f_idsIfLi32ELi3ELi1EEvPKT_PKfPKiS6_S6_Pfiiiiiiiiiiiiii15HIP_vector_typeIjLj3EES9_@rel32@hi+12
	s_getpc_b64 s[6:7]
	s_add_u32 s6, s6, _ZL14no_device_codePKciS0_iS0_@rel32@lo+4
	s_addc_u32 s7, s7, _ZL14no_device_codePKciS0_iS0_@rel32@hi+12
	v_mov_b32_e32 v0, 0x238
	v_mov_b32_e32 v1, s4
	;; [unrolled: 1-line block ×3, first 2 shown]
	s_mov_b32 s32, 0
	s_swappc_b64 s[30:31], s[6:7]
	.section	.rodata,"a",@progbits
	.p2align	6, 0x0
	.amdhsa_kernel _ZL13mul_mat_f_idsI7__half2Li64ELi3ELi7EEvPKT_PKfPKiS7_S7_Pfiiiiiiiiiiiiii15HIP_vector_typeIjLj3EESA_
		.amdhsa_group_segment_fixed_size 0
		.amdhsa_private_segment_fixed_size 16
		.amdhsa_kernarg_size 384
		.amdhsa_user_sgpr_count 6
		.amdhsa_user_sgpr_private_segment_buffer 1
		.amdhsa_user_sgpr_dispatch_ptr 0
		.amdhsa_user_sgpr_queue_ptr 0
		.amdhsa_user_sgpr_kernarg_segment_ptr 1
		.amdhsa_user_sgpr_dispatch_id 0
		.amdhsa_user_sgpr_flat_scratch_init 0
		.amdhsa_user_sgpr_private_segment_size 0
		.amdhsa_uses_dynamic_stack 0
		.amdhsa_system_sgpr_private_segment_wavefront_offset 1
		.amdhsa_system_sgpr_workgroup_id_x 1
		.amdhsa_system_sgpr_workgroup_id_y 0
		.amdhsa_system_sgpr_workgroup_id_z 0
		.amdhsa_system_sgpr_workgroup_info 0
		.amdhsa_system_vgpr_workitem_id 0
		.amdhsa_next_free_vgpr 38
		.amdhsa_next_free_sgpr 34
		.amdhsa_reserve_vcc 1
		.amdhsa_reserve_flat_scratch 0
		.amdhsa_float_round_mode_32 0
		.amdhsa_float_round_mode_16_64 0
		.amdhsa_float_denorm_mode_32 3
		.amdhsa_float_denorm_mode_16_64 3
		.amdhsa_dx10_clamp 1
		.amdhsa_ieee_mode 1
		.amdhsa_fp16_overflow 0
		.amdhsa_exception_fp_ieee_invalid_op 0
		.amdhsa_exception_fp_denorm_src 0
		.amdhsa_exception_fp_ieee_div_zero 0
		.amdhsa_exception_fp_ieee_overflow 0
		.amdhsa_exception_fp_ieee_underflow 0
		.amdhsa_exception_fp_ieee_inexact 0
		.amdhsa_exception_int_div_zero 0
	.end_amdhsa_kernel
	.section	.text._ZL13mul_mat_f_idsI7__half2Li64ELi3ELi7EEvPKT_PKfPKiS7_S7_Pfiiiiiiiiiiiiii15HIP_vector_typeIjLj3EESA_,"axG",@progbits,_ZL13mul_mat_f_idsI7__half2Li64ELi3ELi7EEvPKT_PKfPKiS7_S7_Pfiiiiiiiiiiiiii15HIP_vector_typeIjLj3EESA_,comdat
.Lfunc_end117:
	.size	_ZL13mul_mat_f_idsI7__half2Li64ELi3ELi7EEvPKT_PKfPKiS7_S7_Pfiiiiiiiiiiiiii15HIP_vector_typeIjLj3EESA_, .Lfunc_end117-_ZL13mul_mat_f_idsI7__half2Li64ELi3ELi7EEvPKT_PKfPKiS7_S7_Pfiiiiiiiiiiiiii15HIP_vector_typeIjLj3EESA_
                                        ; -- End function
	.set _ZL13mul_mat_f_idsI7__half2Li64ELi3ELi7EEvPKT_PKfPKiS7_S7_Pfiiiiiiiiiiiiii15HIP_vector_typeIjLj3EESA_.num_vgpr, max(3, .L_ZL14no_device_codePKciS0_iS0_.num_vgpr)
	.set _ZL13mul_mat_f_idsI7__half2Li64ELi3ELi7EEvPKT_PKfPKiS7_S7_Pfiiiiiiiiiiiiii15HIP_vector_typeIjLj3EESA_.num_agpr, max(0, .L_ZL14no_device_codePKciS0_iS0_.num_agpr)
	.set _ZL13mul_mat_f_idsI7__half2Li64ELi3ELi7EEvPKT_PKfPKiS7_S7_Pfiiiiiiiiiiiiii15HIP_vector_typeIjLj3EESA_.numbered_sgpr, max(33, .L_ZL14no_device_codePKciS0_iS0_.numbered_sgpr)
	.set _ZL13mul_mat_f_idsI7__half2Li64ELi3ELi7EEvPKT_PKfPKiS7_S7_Pfiiiiiiiiiiiiii15HIP_vector_typeIjLj3EESA_.num_named_barrier, max(0, .L_ZL14no_device_codePKciS0_iS0_.num_named_barrier)
	.set _ZL13mul_mat_f_idsI7__half2Li64ELi3ELi7EEvPKT_PKfPKiS7_S7_Pfiiiiiiiiiiiiii15HIP_vector_typeIjLj3EESA_.private_seg_size, 0+max(.L_ZL14no_device_codePKciS0_iS0_.private_seg_size)
	.set _ZL13mul_mat_f_idsI7__half2Li64ELi3ELi7EEvPKT_PKfPKiS7_S7_Pfiiiiiiiiiiiiii15HIP_vector_typeIjLj3EESA_.uses_vcc, or(1, .L_ZL14no_device_codePKciS0_iS0_.uses_vcc)
	.set _ZL13mul_mat_f_idsI7__half2Li64ELi3ELi7EEvPKT_PKfPKiS7_S7_Pfiiiiiiiiiiiiii15HIP_vector_typeIjLj3EESA_.uses_flat_scratch, or(0, .L_ZL14no_device_codePKciS0_iS0_.uses_flat_scratch)
	.set _ZL13mul_mat_f_idsI7__half2Li64ELi3ELi7EEvPKT_PKfPKiS7_S7_Pfiiiiiiiiiiiiii15HIP_vector_typeIjLj3EESA_.has_dyn_sized_stack, or(0, .L_ZL14no_device_codePKciS0_iS0_.has_dyn_sized_stack)
	.set _ZL13mul_mat_f_idsI7__half2Li64ELi3ELi7EEvPKT_PKfPKiS7_S7_Pfiiiiiiiiiiiiii15HIP_vector_typeIjLj3EESA_.has_recursion, or(0, .L_ZL14no_device_codePKciS0_iS0_.has_recursion)
	.set _ZL13mul_mat_f_idsI7__half2Li64ELi3ELi7EEvPKT_PKfPKiS7_S7_Pfiiiiiiiiiiiiii15HIP_vector_typeIjLj3EESA_.has_indirect_call, or(0, .L_ZL14no_device_codePKciS0_iS0_.has_indirect_call)
	.section	.AMDGPU.csdata,"",@progbits
; Kernel info:
; codeLenInByte = 84
; TotalNumSgprs: 38
; NumVgprs: 38
; ScratchSize: 16
; MemoryBound: 0
; FloatMode: 240
; IeeeMode: 1
; LDSByteSize: 0 bytes/workgroup (compile time only)
; SGPRBlocks: 4
; VGPRBlocks: 9
; NumSGPRsForWavesPerEU: 38
; NumVGPRsForWavesPerEU: 38
; Occupancy: 6
; WaveLimiterHint : 1
; COMPUTE_PGM_RSRC2:SCRATCH_EN: 1
; COMPUTE_PGM_RSRC2:USER_SGPR: 6
; COMPUTE_PGM_RSRC2:TRAP_HANDLER: 0
; COMPUTE_PGM_RSRC2:TGID_X_EN: 1
; COMPUTE_PGM_RSRC2:TGID_Y_EN: 0
; COMPUTE_PGM_RSRC2:TGID_Z_EN: 0
; COMPUTE_PGM_RSRC2:TIDIG_COMP_CNT: 0
	.section	.text._ZL9mul_mat_fI7__half2Li64ELi3ELi7ELb1EEvPKT_PKfPKiPfiiiiiiiiiiiiiiii,"axG",@progbits,_ZL9mul_mat_fI7__half2Li64ELi3ELi7ELb1EEvPKT_PKfPKiPfiiiiiiiiiiiiiiii,comdat
	.globl	_ZL9mul_mat_fI7__half2Li64ELi3ELi7ELb1EEvPKT_PKfPKiPfiiiiiiiiiiiiiiii ; -- Begin function _ZL9mul_mat_fI7__half2Li64ELi3ELi7ELb1EEvPKT_PKfPKiPfiiiiiiiiiiiiiiii
	.p2align	8
	.type	_ZL9mul_mat_fI7__half2Li64ELi3ELi7ELb1EEvPKT_PKfPKiPfiiiiiiiiiiiiiiii,@function
_ZL9mul_mat_fI7__half2Li64ELi3ELi7ELb1EEvPKT_PKfPKiPfiiiiiiiiiiiiiiii: ; @_ZL9mul_mat_fI7__half2Li64ELi3ELi7ELb1EEvPKT_PKfPKiPfiiiiiiiiiiiiiiii
; %bb.0:
	s_add_u32 s0, s0, s7
	s_addc_u32 s1, s1, 0
	s_add_u32 s8, s4, 0x60
	s_addc_u32 s9, s5, 0
	s_getpc_b64 s[4:5]
	s_add_u32 s4, s4, __FUNCTION__._ZL9mul_mat_fIfLi32ELi3ELi1ELb1EEvPKT_PKfPKiPfiiiiiiiiiiiiiiii@rel32@lo+4
	s_addc_u32 s5, s5, __FUNCTION__._ZL9mul_mat_fIfLi32ELi3ELi1ELb1EEvPKT_PKfPKiPfiiiiiiiiiiiiiiii@rel32@hi+12
	s_getpc_b64 s[6:7]
	s_add_u32 s6, s6, _ZL14no_device_codePKciS0_iS0_@rel32@lo+4
	s_addc_u32 s7, s7, _ZL14no_device_codePKciS0_iS0_@rel32@hi+12
	v_mov_b32_e32 v0, 0x124
	v_mov_b32_e32 v1, s4
	;; [unrolled: 1-line block ×3, first 2 shown]
	s_mov_b32 s32, 0
	s_swappc_b64 s[30:31], s[6:7]
	.section	.rodata,"a",@progbits
	.p2align	6, 0x0
	.amdhsa_kernel _ZL9mul_mat_fI7__half2Li64ELi3ELi7ELb1EEvPKT_PKfPKiPfiiiiiiiiiiiiiiii
		.amdhsa_group_segment_fixed_size 0
		.amdhsa_private_segment_fixed_size 16
		.amdhsa_kernarg_size 352
		.amdhsa_user_sgpr_count 6
		.amdhsa_user_sgpr_private_segment_buffer 1
		.amdhsa_user_sgpr_dispatch_ptr 0
		.amdhsa_user_sgpr_queue_ptr 0
		.amdhsa_user_sgpr_kernarg_segment_ptr 1
		.amdhsa_user_sgpr_dispatch_id 0
		.amdhsa_user_sgpr_flat_scratch_init 0
		.amdhsa_user_sgpr_private_segment_size 0
		.amdhsa_uses_dynamic_stack 0
		.amdhsa_system_sgpr_private_segment_wavefront_offset 1
		.amdhsa_system_sgpr_workgroup_id_x 1
		.amdhsa_system_sgpr_workgroup_id_y 0
		.amdhsa_system_sgpr_workgroup_id_z 0
		.amdhsa_system_sgpr_workgroup_info 0
		.amdhsa_system_vgpr_workitem_id 0
		.amdhsa_next_free_vgpr 38
		.amdhsa_next_free_sgpr 34
		.amdhsa_reserve_vcc 1
		.amdhsa_reserve_flat_scratch 0
		.amdhsa_float_round_mode_32 0
		.amdhsa_float_round_mode_16_64 0
		.amdhsa_float_denorm_mode_32 3
		.amdhsa_float_denorm_mode_16_64 3
		.amdhsa_dx10_clamp 1
		.amdhsa_ieee_mode 1
		.amdhsa_fp16_overflow 0
		.amdhsa_exception_fp_ieee_invalid_op 0
		.amdhsa_exception_fp_denorm_src 0
		.amdhsa_exception_fp_ieee_div_zero 0
		.amdhsa_exception_fp_ieee_overflow 0
		.amdhsa_exception_fp_ieee_underflow 0
		.amdhsa_exception_fp_ieee_inexact 0
		.amdhsa_exception_int_div_zero 0
	.end_amdhsa_kernel
	.section	.text._ZL9mul_mat_fI7__half2Li64ELi3ELi7ELb1EEvPKT_PKfPKiPfiiiiiiiiiiiiiiii,"axG",@progbits,_ZL9mul_mat_fI7__half2Li64ELi3ELi7ELb1EEvPKT_PKfPKiPfiiiiiiiiiiiiiiii,comdat
.Lfunc_end118:
	.size	_ZL9mul_mat_fI7__half2Li64ELi3ELi7ELb1EEvPKT_PKfPKiPfiiiiiiiiiiiiiiii, .Lfunc_end118-_ZL9mul_mat_fI7__half2Li64ELi3ELi7ELb1EEvPKT_PKfPKiPfiiiiiiiiiiiiiiii
                                        ; -- End function
	.set _ZL9mul_mat_fI7__half2Li64ELi3ELi7ELb1EEvPKT_PKfPKiPfiiiiiiiiiiiiiiii.num_vgpr, max(3, .L_ZL14no_device_codePKciS0_iS0_.num_vgpr)
	.set _ZL9mul_mat_fI7__half2Li64ELi3ELi7ELb1EEvPKT_PKfPKiPfiiiiiiiiiiiiiiii.num_agpr, max(0, .L_ZL14no_device_codePKciS0_iS0_.num_agpr)
	.set _ZL9mul_mat_fI7__half2Li64ELi3ELi7ELb1EEvPKT_PKfPKiPfiiiiiiiiiiiiiiii.numbered_sgpr, max(33, .L_ZL14no_device_codePKciS0_iS0_.numbered_sgpr)
	.set _ZL9mul_mat_fI7__half2Li64ELi3ELi7ELb1EEvPKT_PKfPKiPfiiiiiiiiiiiiiiii.num_named_barrier, max(0, .L_ZL14no_device_codePKciS0_iS0_.num_named_barrier)
	.set _ZL9mul_mat_fI7__half2Li64ELi3ELi7ELb1EEvPKT_PKfPKiPfiiiiiiiiiiiiiiii.private_seg_size, 0+max(.L_ZL14no_device_codePKciS0_iS0_.private_seg_size)
	.set _ZL9mul_mat_fI7__half2Li64ELi3ELi7ELb1EEvPKT_PKfPKiPfiiiiiiiiiiiiiiii.uses_vcc, or(1, .L_ZL14no_device_codePKciS0_iS0_.uses_vcc)
	.set _ZL9mul_mat_fI7__half2Li64ELi3ELi7ELb1EEvPKT_PKfPKiPfiiiiiiiiiiiiiiii.uses_flat_scratch, or(0, .L_ZL14no_device_codePKciS0_iS0_.uses_flat_scratch)
	.set _ZL9mul_mat_fI7__half2Li64ELi3ELi7ELb1EEvPKT_PKfPKiPfiiiiiiiiiiiiiiii.has_dyn_sized_stack, or(0, .L_ZL14no_device_codePKciS0_iS0_.has_dyn_sized_stack)
	.set _ZL9mul_mat_fI7__half2Li64ELi3ELi7ELb1EEvPKT_PKfPKiPfiiiiiiiiiiiiiiii.has_recursion, or(0, .L_ZL14no_device_codePKciS0_iS0_.has_recursion)
	.set _ZL9mul_mat_fI7__half2Li64ELi3ELi7ELb1EEvPKT_PKfPKiPfiiiiiiiiiiiiiiii.has_indirect_call, or(0, .L_ZL14no_device_codePKciS0_iS0_.has_indirect_call)
	.section	.AMDGPU.csdata,"",@progbits
; Kernel info:
; codeLenInByte = 84
; TotalNumSgprs: 38
; NumVgprs: 38
; ScratchSize: 16
; MemoryBound: 0
; FloatMode: 240
; IeeeMode: 1
; LDSByteSize: 0 bytes/workgroup (compile time only)
; SGPRBlocks: 4
; VGPRBlocks: 9
; NumSGPRsForWavesPerEU: 38
; NumVGPRsForWavesPerEU: 38
; Occupancy: 6
; WaveLimiterHint : 1
; COMPUTE_PGM_RSRC2:SCRATCH_EN: 1
; COMPUTE_PGM_RSRC2:USER_SGPR: 6
; COMPUTE_PGM_RSRC2:TRAP_HANDLER: 0
; COMPUTE_PGM_RSRC2:TGID_X_EN: 1
; COMPUTE_PGM_RSRC2:TGID_Y_EN: 0
; COMPUTE_PGM_RSRC2:TGID_Z_EN: 0
; COMPUTE_PGM_RSRC2:TIDIG_COMP_CNT: 0
	.section	.text._ZL9mul_mat_fI7__half2Li64ELi3ELi7ELb0EEvPKT_PKfPKiPfiiiiiiiiiiiiiiii,"axG",@progbits,_ZL9mul_mat_fI7__half2Li64ELi3ELi7ELb0EEvPKT_PKfPKiPfiiiiiiiiiiiiiiii,comdat
	.globl	_ZL9mul_mat_fI7__half2Li64ELi3ELi7ELb0EEvPKT_PKfPKiPfiiiiiiiiiiiiiiii ; -- Begin function _ZL9mul_mat_fI7__half2Li64ELi3ELi7ELb0EEvPKT_PKfPKiPfiiiiiiiiiiiiiiii
	.p2align	8
	.type	_ZL9mul_mat_fI7__half2Li64ELi3ELi7ELb0EEvPKT_PKfPKiPfiiiiiiiiiiiiiiii,@function
_ZL9mul_mat_fI7__half2Li64ELi3ELi7ELb0EEvPKT_PKfPKiPfiiiiiiiiiiiiiiii: ; @_ZL9mul_mat_fI7__half2Li64ELi3ELi7ELb0EEvPKT_PKfPKiPfiiiiiiiiiiiiiiii
; %bb.0:
	s_add_u32 s0, s0, s7
	s_addc_u32 s1, s1, 0
	s_add_u32 s8, s4, 0x60
	s_addc_u32 s9, s5, 0
	s_getpc_b64 s[4:5]
	s_add_u32 s4, s4, __FUNCTION__._ZL9mul_mat_fIfLi32ELi3ELi1ELb1EEvPKT_PKfPKiPfiiiiiiiiiiiiiiii@rel32@lo+4
	s_addc_u32 s5, s5, __FUNCTION__._ZL9mul_mat_fIfLi32ELi3ELi1ELb1EEvPKT_PKfPKiPfiiiiiiiiiiiiiiii@rel32@hi+12
	s_getpc_b64 s[6:7]
	s_add_u32 s6, s6, _ZL14no_device_codePKciS0_iS0_@rel32@lo+4
	s_addc_u32 s7, s7, _ZL14no_device_codePKciS0_iS0_@rel32@hi+12
	v_mov_b32_e32 v0, 0x124
	v_mov_b32_e32 v1, s4
	;; [unrolled: 1-line block ×3, first 2 shown]
	s_mov_b32 s32, 0
	s_swappc_b64 s[30:31], s[6:7]
	.section	.rodata,"a",@progbits
	.p2align	6, 0x0
	.amdhsa_kernel _ZL9mul_mat_fI7__half2Li64ELi3ELi7ELb0EEvPKT_PKfPKiPfiiiiiiiiiiiiiiii
		.amdhsa_group_segment_fixed_size 0
		.amdhsa_private_segment_fixed_size 16
		.amdhsa_kernarg_size 352
		.amdhsa_user_sgpr_count 6
		.amdhsa_user_sgpr_private_segment_buffer 1
		.amdhsa_user_sgpr_dispatch_ptr 0
		.amdhsa_user_sgpr_queue_ptr 0
		.amdhsa_user_sgpr_kernarg_segment_ptr 1
		.amdhsa_user_sgpr_dispatch_id 0
		.amdhsa_user_sgpr_flat_scratch_init 0
		.amdhsa_user_sgpr_private_segment_size 0
		.amdhsa_uses_dynamic_stack 0
		.amdhsa_system_sgpr_private_segment_wavefront_offset 1
		.amdhsa_system_sgpr_workgroup_id_x 1
		.amdhsa_system_sgpr_workgroup_id_y 0
		.amdhsa_system_sgpr_workgroup_id_z 0
		.amdhsa_system_sgpr_workgroup_info 0
		.amdhsa_system_vgpr_workitem_id 0
		.amdhsa_next_free_vgpr 38
		.amdhsa_next_free_sgpr 34
		.amdhsa_reserve_vcc 1
		.amdhsa_reserve_flat_scratch 0
		.amdhsa_float_round_mode_32 0
		.amdhsa_float_round_mode_16_64 0
		.amdhsa_float_denorm_mode_32 3
		.amdhsa_float_denorm_mode_16_64 3
		.amdhsa_dx10_clamp 1
		.amdhsa_ieee_mode 1
		.amdhsa_fp16_overflow 0
		.amdhsa_exception_fp_ieee_invalid_op 0
		.amdhsa_exception_fp_denorm_src 0
		.amdhsa_exception_fp_ieee_div_zero 0
		.amdhsa_exception_fp_ieee_overflow 0
		.amdhsa_exception_fp_ieee_underflow 0
		.amdhsa_exception_fp_ieee_inexact 0
		.amdhsa_exception_int_div_zero 0
	.end_amdhsa_kernel
	.section	.text._ZL9mul_mat_fI7__half2Li64ELi3ELi7ELb0EEvPKT_PKfPKiPfiiiiiiiiiiiiiiii,"axG",@progbits,_ZL9mul_mat_fI7__half2Li64ELi3ELi7ELb0EEvPKT_PKfPKiPfiiiiiiiiiiiiiiii,comdat
.Lfunc_end119:
	.size	_ZL9mul_mat_fI7__half2Li64ELi3ELi7ELb0EEvPKT_PKfPKiPfiiiiiiiiiiiiiiii, .Lfunc_end119-_ZL9mul_mat_fI7__half2Li64ELi3ELi7ELb0EEvPKT_PKfPKiPfiiiiiiiiiiiiiiii
                                        ; -- End function
	.set _ZL9mul_mat_fI7__half2Li64ELi3ELi7ELb0EEvPKT_PKfPKiPfiiiiiiiiiiiiiiii.num_vgpr, max(3, .L_ZL14no_device_codePKciS0_iS0_.num_vgpr)
	.set _ZL9mul_mat_fI7__half2Li64ELi3ELi7ELb0EEvPKT_PKfPKiPfiiiiiiiiiiiiiiii.num_agpr, max(0, .L_ZL14no_device_codePKciS0_iS0_.num_agpr)
	.set _ZL9mul_mat_fI7__half2Li64ELi3ELi7ELb0EEvPKT_PKfPKiPfiiiiiiiiiiiiiiii.numbered_sgpr, max(33, .L_ZL14no_device_codePKciS0_iS0_.numbered_sgpr)
	.set _ZL9mul_mat_fI7__half2Li64ELi3ELi7ELb0EEvPKT_PKfPKiPfiiiiiiiiiiiiiiii.num_named_barrier, max(0, .L_ZL14no_device_codePKciS0_iS0_.num_named_barrier)
	.set _ZL9mul_mat_fI7__half2Li64ELi3ELi7ELb0EEvPKT_PKfPKiPfiiiiiiiiiiiiiiii.private_seg_size, 0+max(.L_ZL14no_device_codePKciS0_iS0_.private_seg_size)
	.set _ZL9mul_mat_fI7__half2Li64ELi3ELi7ELb0EEvPKT_PKfPKiPfiiiiiiiiiiiiiiii.uses_vcc, or(1, .L_ZL14no_device_codePKciS0_iS0_.uses_vcc)
	.set _ZL9mul_mat_fI7__half2Li64ELi3ELi7ELb0EEvPKT_PKfPKiPfiiiiiiiiiiiiiiii.uses_flat_scratch, or(0, .L_ZL14no_device_codePKciS0_iS0_.uses_flat_scratch)
	.set _ZL9mul_mat_fI7__half2Li64ELi3ELi7ELb0EEvPKT_PKfPKiPfiiiiiiiiiiiiiiii.has_dyn_sized_stack, or(0, .L_ZL14no_device_codePKciS0_iS0_.has_dyn_sized_stack)
	.set _ZL9mul_mat_fI7__half2Li64ELi3ELi7ELb0EEvPKT_PKfPKiPfiiiiiiiiiiiiiiii.has_recursion, or(0, .L_ZL14no_device_codePKciS0_iS0_.has_recursion)
	.set _ZL9mul_mat_fI7__half2Li64ELi3ELi7ELb0EEvPKT_PKfPKiPfiiiiiiiiiiiiiiii.has_indirect_call, or(0, .L_ZL14no_device_codePKciS0_iS0_.has_indirect_call)
	.section	.AMDGPU.csdata,"",@progbits
; Kernel info:
; codeLenInByte = 84
; TotalNumSgprs: 38
; NumVgprs: 38
; ScratchSize: 16
; MemoryBound: 0
; FloatMode: 240
; IeeeMode: 1
; LDSByteSize: 0 bytes/workgroup (compile time only)
; SGPRBlocks: 4
; VGPRBlocks: 9
; NumSGPRsForWavesPerEU: 38
; NumVGPRsForWavesPerEU: 38
; Occupancy: 6
; WaveLimiterHint : 1
; COMPUTE_PGM_RSRC2:SCRATCH_EN: 1
; COMPUTE_PGM_RSRC2:USER_SGPR: 6
; COMPUTE_PGM_RSRC2:TRAP_HANDLER: 0
; COMPUTE_PGM_RSRC2:TGID_X_EN: 1
; COMPUTE_PGM_RSRC2:TGID_Y_EN: 0
; COMPUTE_PGM_RSRC2:TGID_Z_EN: 0
; COMPUTE_PGM_RSRC2:TIDIG_COMP_CNT: 0
	.section	.text._ZL13mul_mat_f_idsI7__half2Li64ELi3ELi8EEvPKT_PKfPKiS7_S7_Pfiiiiiiiiiiiiii15HIP_vector_typeIjLj3EESA_,"axG",@progbits,_ZL13mul_mat_f_idsI7__half2Li64ELi3ELi8EEvPKT_PKfPKiS7_S7_Pfiiiiiiiiiiiiii15HIP_vector_typeIjLj3EESA_,comdat
	.globl	_ZL13mul_mat_f_idsI7__half2Li64ELi3ELi8EEvPKT_PKfPKiS7_S7_Pfiiiiiiiiiiiiii15HIP_vector_typeIjLj3EESA_ ; -- Begin function _ZL13mul_mat_f_idsI7__half2Li64ELi3ELi8EEvPKT_PKfPKiS7_S7_Pfiiiiiiiiiiiiii15HIP_vector_typeIjLj3EESA_
	.p2align	8
	.type	_ZL13mul_mat_f_idsI7__half2Li64ELi3ELi8EEvPKT_PKfPKiS7_S7_Pfiiiiiiiiiiiiii15HIP_vector_typeIjLj3EESA_,@function
_ZL13mul_mat_f_idsI7__half2Li64ELi3ELi8EEvPKT_PKfPKiS7_S7_Pfiiiiiiiiiiiiii15HIP_vector_typeIjLj3EESA_: ; @_ZL13mul_mat_f_idsI7__half2Li64ELi3ELi8EEvPKT_PKfPKiS7_S7_Pfiiiiiiiiiiiiii15HIP_vector_typeIjLj3EESA_
; %bb.0:
	s_add_u32 s0, s0, s7
	s_addc_u32 s1, s1, 0
	s_add_u32 s8, s4, 0x80
	s_addc_u32 s9, s5, 0
	s_getpc_b64 s[4:5]
	s_add_u32 s4, s4, __FUNCTION__._ZL13mul_mat_f_idsIfLi32ELi3ELi1EEvPKT_PKfPKiS6_S6_Pfiiiiiiiiiiiiii15HIP_vector_typeIjLj3EES9_@rel32@lo+4
	s_addc_u32 s5, s5, __FUNCTION__._ZL13mul_mat_f_idsIfLi32ELi3ELi1EEvPKT_PKfPKiS6_S6_Pfiiiiiiiiiiiiii15HIP_vector_typeIjLj3EES9_@rel32@hi+12
	s_getpc_b64 s[6:7]
	s_add_u32 s6, s6, _ZL14no_device_codePKciS0_iS0_@rel32@lo+4
	s_addc_u32 s7, s7, _ZL14no_device_codePKciS0_iS0_@rel32@hi+12
	v_mov_b32_e32 v0, 0x238
	v_mov_b32_e32 v1, s4
	;; [unrolled: 1-line block ×3, first 2 shown]
	s_mov_b32 s32, 0
	s_swappc_b64 s[30:31], s[6:7]
	.section	.rodata,"a",@progbits
	.p2align	6, 0x0
	.amdhsa_kernel _ZL13mul_mat_f_idsI7__half2Li64ELi3ELi8EEvPKT_PKfPKiS7_S7_Pfiiiiiiiiiiiiii15HIP_vector_typeIjLj3EESA_
		.amdhsa_group_segment_fixed_size 0
		.amdhsa_private_segment_fixed_size 16
		.amdhsa_kernarg_size 384
		.amdhsa_user_sgpr_count 6
		.amdhsa_user_sgpr_private_segment_buffer 1
		.amdhsa_user_sgpr_dispatch_ptr 0
		.amdhsa_user_sgpr_queue_ptr 0
		.amdhsa_user_sgpr_kernarg_segment_ptr 1
		.amdhsa_user_sgpr_dispatch_id 0
		.amdhsa_user_sgpr_flat_scratch_init 0
		.amdhsa_user_sgpr_private_segment_size 0
		.amdhsa_uses_dynamic_stack 0
		.amdhsa_system_sgpr_private_segment_wavefront_offset 1
		.amdhsa_system_sgpr_workgroup_id_x 1
		.amdhsa_system_sgpr_workgroup_id_y 0
		.amdhsa_system_sgpr_workgroup_id_z 0
		.amdhsa_system_sgpr_workgroup_info 0
		.amdhsa_system_vgpr_workitem_id 0
		.amdhsa_next_free_vgpr 38
		.amdhsa_next_free_sgpr 34
		.amdhsa_reserve_vcc 1
		.amdhsa_reserve_flat_scratch 0
		.amdhsa_float_round_mode_32 0
		.amdhsa_float_round_mode_16_64 0
		.amdhsa_float_denorm_mode_32 3
		.amdhsa_float_denorm_mode_16_64 3
		.amdhsa_dx10_clamp 1
		.amdhsa_ieee_mode 1
		.amdhsa_fp16_overflow 0
		.amdhsa_exception_fp_ieee_invalid_op 0
		.amdhsa_exception_fp_denorm_src 0
		.amdhsa_exception_fp_ieee_div_zero 0
		.amdhsa_exception_fp_ieee_overflow 0
		.amdhsa_exception_fp_ieee_underflow 0
		.amdhsa_exception_fp_ieee_inexact 0
		.amdhsa_exception_int_div_zero 0
	.end_amdhsa_kernel
	.section	.text._ZL13mul_mat_f_idsI7__half2Li64ELi3ELi8EEvPKT_PKfPKiS7_S7_Pfiiiiiiiiiiiiii15HIP_vector_typeIjLj3EESA_,"axG",@progbits,_ZL13mul_mat_f_idsI7__half2Li64ELi3ELi8EEvPKT_PKfPKiS7_S7_Pfiiiiiiiiiiiiii15HIP_vector_typeIjLj3EESA_,comdat
.Lfunc_end120:
	.size	_ZL13mul_mat_f_idsI7__half2Li64ELi3ELi8EEvPKT_PKfPKiS7_S7_Pfiiiiiiiiiiiiii15HIP_vector_typeIjLj3EESA_, .Lfunc_end120-_ZL13mul_mat_f_idsI7__half2Li64ELi3ELi8EEvPKT_PKfPKiS7_S7_Pfiiiiiiiiiiiiii15HIP_vector_typeIjLj3EESA_
                                        ; -- End function
	.set _ZL13mul_mat_f_idsI7__half2Li64ELi3ELi8EEvPKT_PKfPKiS7_S7_Pfiiiiiiiiiiiiii15HIP_vector_typeIjLj3EESA_.num_vgpr, max(3, .L_ZL14no_device_codePKciS0_iS0_.num_vgpr)
	.set _ZL13mul_mat_f_idsI7__half2Li64ELi3ELi8EEvPKT_PKfPKiS7_S7_Pfiiiiiiiiiiiiii15HIP_vector_typeIjLj3EESA_.num_agpr, max(0, .L_ZL14no_device_codePKciS0_iS0_.num_agpr)
	.set _ZL13mul_mat_f_idsI7__half2Li64ELi3ELi8EEvPKT_PKfPKiS7_S7_Pfiiiiiiiiiiiiii15HIP_vector_typeIjLj3EESA_.numbered_sgpr, max(33, .L_ZL14no_device_codePKciS0_iS0_.numbered_sgpr)
	.set _ZL13mul_mat_f_idsI7__half2Li64ELi3ELi8EEvPKT_PKfPKiS7_S7_Pfiiiiiiiiiiiiii15HIP_vector_typeIjLj3EESA_.num_named_barrier, max(0, .L_ZL14no_device_codePKciS0_iS0_.num_named_barrier)
	.set _ZL13mul_mat_f_idsI7__half2Li64ELi3ELi8EEvPKT_PKfPKiS7_S7_Pfiiiiiiiiiiiiii15HIP_vector_typeIjLj3EESA_.private_seg_size, 0+max(.L_ZL14no_device_codePKciS0_iS0_.private_seg_size)
	.set _ZL13mul_mat_f_idsI7__half2Li64ELi3ELi8EEvPKT_PKfPKiS7_S7_Pfiiiiiiiiiiiiii15HIP_vector_typeIjLj3EESA_.uses_vcc, or(1, .L_ZL14no_device_codePKciS0_iS0_.uses_vcc)
	.set _ZL13mul_mat_f_idsI7__half2Li64ELi3ELi8EEvPKT_PKfPKiS7_S7_Pfiiiiiiiiiiiiii15HIP_vector_typeIjLj3EESA_.uses_flat_scratch, or(0, .L_ZL14no_device_codePKciS0_iS0_.uses_flat_scratch)
	.set _ZL13mul_mat_f_idsI7__half2Li64ELi3ELi8EEvPKT_PKfPKiS7_S7_Pfiiiiiiiiiiiiii15HIP_vector_typeIjLj3EESA_.has_dyn_sized_stack, or(0, .L_ZL14no_device_codePKciS0_iS0_.has_dyn_sized_stack)
	.set _ZL13mul_mat_f_idsI7__half2Li64ELi3ELi8EEvPKT_PKfPKiS7_S7_Pfiiiiiiiiiiiiii15HIP_vector_typeIjLj3EESA_.has_recursion, or(0, .L_ZL14no_device_codePKciS0_iS0_.has_recursion)
	.set _ZL13mul_mat_f_idsI7__half2Li64ELi3ELi8EEvPKT_PKfPKiS7_S7_Pfiiiiiiiiiiiiii15HIP_vector_typeIjLj3EESA_.has_indirect_call, or(0, .L_ZL14no_device_codePKciS0_iS0_.has_indirect_call)
	.section	.AMDGPU.csdata,"",@progbits
; Kernel info:
; codeLenInByte = 84
; TotalNumSgprs: 38
; NumVgprs: 38
; ScratchSize: 16
; MemoryBound: 0
; FloatMode: 240
; IeeeMode: 1
; LDSByteSize: 0 bytes/workgroup (compile time only)
; SGPRBlocks: 4
; VGPRBlocks: 9
; NumSGPRsForWavesPerEU: 38
; NumVGPRsForWavesPerEU: 38
; Occupancy: 6
; WaveLimiterHint : 1
; COMPUTE_PGM_RSRC2:SCRATCH_EN: 1
; COMPUTE_PGM_RSRC2:USER_SGPR: 6
; COMPUTE_PGM_RSRC2:TRAP_HANDLER: 0
; COMPUTE_PGM_RSRC2:TGID_X_EN: 1
; COMPUTE_PGM_RSRC2:TGID_Y_EN: 0
; COMPUTE_PGM_RSRC2:TGID_Z_EN: 0
; COMPUTE_PGM_RSRC2:TIDIG_COMP_CNT: 0
	.section	.text._ZL9mul_mat_fI7__half2Li64ELi3ELi8ELb1EEvPKT_PKfPKiPfiiiiiiiiiiiiiiii,"axG",@progbits,_ZL9mul_mat_fI7__half2Li64ELi3ELi8ELb1EEvPKT_PKfPKiPfiiiiiiiiiiiiiiii,comdat
	.globl	_ZL9mul_mat_fI7__half2Li64ELi3ELi8ELb1EEvPKT_PKfPKiPfiiiiiiiiiiiiiiii ; -- Begin function _ZL9mul_mat_fI7__half2Li64ELi3ELi8ELb1EEvPKT_PKfPKiPfiiiiiiiiiiiiiiii
	.p2align	8
	.type	_ZL9mul_mat_fI7__half2Li64ELi3ELi8ELb1EEvPKT_PKfPKiPfiiiiiiiiiiiiiiii,@function
_ZL9mul_mat_fI7__half2Li64ELi3ELi8ELb1EEvPKT_PKfPKiPfiiiiiiiiiiiiiiii: ; @_ZL9mul_mat_fI7__half2Li64ELi3ELi8ELb1EEvPKT_PKfPKiPfiiiiiiiiiiiiiiii
; %bb.0:
	s_add_u32 s0, s0, s7
	s_addc_u32 s1, s1, 0
	s_add_u32 s8, s4, 0x60
	s_addc_u32 s9, s5, 0
	s_getpc_b64 s[4:5]
	s_add_u32 s4, s4, __FUNCTION__._ZL9mul_mat_fIfLi32ELi3ELi1ELb1EEvPKT_PKfPKiPfiiiiiiiiiiiiiiii@rel32@lo+4
	s_addc_u32 s5, s5, __FUNCTION__._ZL9mul_mat_fIfLi32ELi3ELi1ELb1EEvPKT_PKfPKiPfiiiiiiiiiiiiiiii@rel32@hi+12
	s_getpc_b64 s[6:7]
	s_add_u32 s6, s6, _ZL14no_device_codePKciS0_iS0_@rel32@lo+4
	s_addc_u32 s7, s7, _ZL14no_device_codePKciS0_iS0_@rel32@hi+12
	v_mov_b32_e32 v0, 0x124
	v_mov_b32_e32 v1, s4
	;; [unrolled: 1-line block ×3, first 2 shown]
	s_mov_b32 s32, 0
	s_swappc_b64 s[30:31], s[6:7]
	.section	.rodata,"a",@progbits
	.p2align	6, 0x0
	.amdhsa_kernel _ZL9mul_mat_fI7__half2Li64ELi3ELi8ELb1EEvPKT_PKfPKiPfiiiiiiiiiiiiiiii
		.amdhsa_group_segment_fixed_size 0
		.amdhsa_private_segment_fixed_size 16
		.amdhsa_kernarg_size 352
		.amdhsa_user_sgpr_count 6
		.amdhsa_user_sgpr_private_segment_buffer 1
		.amdhsa_user_sgpr_dispatch_ptr 0
		.amdhsa_user_sgpr_queue_ptr 0
		.amdhsa_user_sgpr_kernarg_segment_ptr 1
		.amdhsa_user_sgpr_dispatch_id 0
		.amdhsa_user_sgpr_flat_scratch_init 0
		.amdhsa_user_sgpr_private_segment_size 0
		.amdhsa_uses_dynamic_stack 0
		.amdhsa_system_sgpr_private_segment_wavefront_offset 1
		.amdhsa_system_sgpr_workgroup_id_x 1
		.amdhsa_system_sgpr_workgroup_id_y 0
		.amdhsa_system_sgpr_workgroup_id_z 0
		.amdhsa_system_sgpr_workgroup_info 0
		.amdhsa_system_vgpr_workitem_id 0
		.amdhsa_next_free_vgpr 38
		.amdhsa_next_free_sgpr 34
		.amdhsa_reserve_vcc 1
		.amdhsa_reserve_flat_scratch 0
		.amdhsa_float_round_mode_32 0
		.amdhsa_float_round_mode_16_64 0
		.amdhsa_float_denorm_mode_32 3
		.amdhsa_float_denorm_mode_16_64 3
		.amdhsa_dx10_clamp 1
		.amdhsa_ieee_mode 1
		.amdhsa_fp16_overflow 0
		.amdhsa_exception_fp_ieee_invalid_op 0
		.amdhsa_exception_fp_denorm_src 0
		.amdhsa_exception_fp_ieee_div_zero 0
		.amdhsa_exception_fp_ieee_overflow 0
		.amdhsa_exception_fp_ieee_underflow 0
		.amdhsa_exception_fp_ieee_inexact 0
		.amdhsa_exception_int_div_zero 0
	.end_amdhsa_kernel
	.section	.text._ZL9mul_mat_fI7__half2Li64ELi3ELi8ELb1EEvPKT_PKfPKiPfiiiiiiiiiiiiiiii,"axG",@progbits,_ZL9mul_mat_fI7__half2Li64ELi3ELi8ELb1EEvPKT_PKfPKiPfiiiiiiiiiiiiiiii,comdat
.Lfunc_end121:
	.size	_ZL9mul_mat_fI7__half2Li64ELi3ELi8ELb1EEvPKT_PKfPKiPfiiiiiiiiiiiiiiii, .Lfunc_end121-_ZL9mul_mat_fI7__half2Li64ELi3ELi8ELb1EEvPKT_PKfPKiPfiiiiiiiiiiiiiiii
                                        ; -- End function
	.set _ZL9mul_mat_fI7__half2Li64ELi3ELi8ELb1EEvPKT_PKfPKiPfiiiiiiiiiiiiiiii.num_vgpr, max(3, .L_ZL14no_device_codePKciS0_iS0_.num_vgpr)
	.set _ZL9mul_mat_fI7__half2Li64ELi3ELi8ELb1EEvPKT_PKfPKiPfiiiiiiiiiiiiiiii.num_agpr, max(0, .L_ZL14no_device_codePKciS0_iS0_.num_agpr)
	.set _ZL9mul_mat_fI7__half2Li64ELi3ELi8ELb1EEvPKT_PKfPKiPfiiiiiiiiiiiiiiii.numbered_sgpr, max(33, .L_ZL14no_device_codePKciS0_iS0_.numbered_sgpr)
	.set _ZL9mul_mat_fI7__half2Li64ELi3ELi8ELb1EEvPKT_PKfPKiPfiiiiiiiiiiiiiiii.num_named_barrier, max(0, .L_ZL14no_device_codePKciS0_iS0_.num_named_barrier)
	.set _ZL9mul_mat_fI7__half2Li64ELi3ELi8ELb1EEvPKT_PKfPKiPfiiiiiiiiiiiiiiii.private_seg_size, 0+max(.L_ZL14no_device_codePKciS0_iS0_.private_seg_size)
	.set _ZL9mul_mat_fI7__half2Li64ELi3ELi8ELb1EEvPKT_PKfPKiPfiiiiiiiiiiiiiiii.uses_vcc, or(1, .L_ZL14no_device_codePKciS0_iS0_.uses_vcc)
	.set _ZL9mul_mat_fI7__half2Li64ELi3ELi8ELb1EEvPKT_PKfPKiPfiiiiiiiiiiiiiiii.uses_flat_scratch, or(0, .L_ZL14no_device_codePKciS0_iS0_.uses_flat_scratch)
	.set _ZL9mul_mat_fI7__half2Li64ELi3ELi8ELb1EEvPKT_PKfPKiPfiiiiiiiiiiiiiiii.has_dyn_sized_stack, or(0, .L_ZL14no_device_codePKciS0_iS0_.has_dyn_sized_stack)
	.set _ZL9mul_mat_fI7__half2Li64ELi3ELi8ELb1EEvPKT_PKfPKiPfiiiiiiiiiiiiiiii.has_recursion, or(0, .L_ZL14no_device_codePKciS0_iS0_.has_recursion)
	.set _ZL9mul_mat_fI7__half2Li64ELi3ELi8ELb1EEvPKT_PKfPKiPfiiiiiiiiiiiiiiii.has_indirect_call, or(0, .L_ZL14no_device_codePKciS0_iS0_.has_indirect_call)
	.section	.AMDGPU.csdata,"",@progbits
; Kernel info:
; codeLenInByte = 84
; TotalNumSgprs: 38
; NumVgprs: 38
; ScratchSize: 16
; MemoryBound: 0
; FloatMode: 240
; IeeeMode: 1
; LDSByteSize: 0 bytes/workgroup (compile time only)
; SGPRBlocks: 4
; VGPRBlocks: 9
; NumSGPRsForWavesPerEU: 38
; NumVGPRsForWavesPerEU: 38
; Occupancy: 6
; WaveLimiterHint : 1
; COMPUTE_PGM_RSRC2:SCRATCH_EN: 1
; COMPUTE_PGM_RSRC2:USER_SGPR: 6
; COMPUTE_PGM_RSRC2:TRAP_HANDLER: 0
; COMPUTE_PGM_RSRC2:TGID_X_EN: 1
; COMPUTE_PGM_RSRC2:TGID_Y_EN: 0
; COMPUTE_PGM_RSRC2:TGID_Z_EN: 0
; COMPUTE_PGM_RSRC2:TIDIG_COMP_CNT: 0
	.section	.text._ZL9mul_mat_fI7__half2Li64ELi3ELi8ELb0EEvPKT_PKfPKiPfiiiiiiiiiiiiiiii,"axG",@progbits,_ZL9mul_mat_fI7__half2Li64ELi3ELi8ELb0EEvPKT_PKfPKiPfiiiiiiiiiiiiiiii,comdat
	.globl	_ZL9mul_mat_fI7__half2Li64ELi3ELi8ELb0EEvPKT_PKfPKiPfiiiiiiiiiiiiiiii ; -- Begin function _ZL9mul_mat_fI7__half2Li64ELi3ELi8ELb0EEvPKT_PKfPKiPfiiiiiiiiiiiiiiii
	.p2align	8
	.type	_ZL9mul_mat_fI7__half2Li64ELi3ELi8ELb0EEvPKT_PKfPKiPfiiiiiiiiiiiiiiii,@function
_ZL9mul_mat_fI7__half2Li64ELi3ELi8ELb0EEvPKT_PKfPKiPfiiiiiiiiiiiiiiii: ; @_ZL9mul_mat_fI7__half2Li64ELi3ELi8ELb0EEvPKT_PKfPKiPfiiiiiiiiiiiiiiii
; %bb.0:
	s_add_u32 s0, s0, s7
	s_addc_u32 s1, s1, 0
	s_add_u32 s8, s4, 0x60
	s_addc_u32 s9, s5, 0
	s_getpc_b64 s[4:5]
	s_add_u32 s4, s4, __FUNCTION__._ZL9mul_mat_fIfLi32ELi3ELi1ELb1EEvPKT_PKfPKiPfiiiiiiiiiiiiiiii@rel32@lo+4
	s_addc_u32 s5, s5, __FUNCTION__._ZL9mul_mat_fIfLi32ELi3ELi1ELb1EEvPKT_PKfPKiPfiiiiiiiiiiiiiiii@rel32@hi+12
	s_getpc_b64 s[6:7]
	s_add_u32 s6, s6, _ZL14no_device_codePKciS0_iS0_@rel32@lo+4
	s_addc_u32 s7, s7, _ZL14no_device_codePKciS0_iS0_@rel32@hi+12
	v_mov_b32_e32 v0, 0x124
	v_mov_b32_e32 v1, s4
	;; [unrolled: 1-line block ×3, first 2 shown]
	s_mov_b32 s32, 0
	s_swappc_b64 s[30:31], s[6:7]
	.section	.rodata,"a",@progbits
	.p2align	6, 0x0
	.amdhsa_kernel _ZL9mul_mat_fI7__half2Li64ELi3ELi8ELb0EEvPKT_PKfPKiPfiiiiiiiiiiiiiiii
		.amdhsa_group_segment_fixed_size 0
		.amdhsa_private_segment_fixed_size 16
		.amdhsa_kernarg_size 352
		.amdhsa_user_sgpr_count 6
		.amdhsa_user_sgpr_private_segment_buffer 1
		.amdhsa_user_sgpr_dispatch_ptr 0
		.amdhsa_user_sgpr_queue_ptr 0
		.amdhsa_user_sgpr_kernarg_segment_ptr 1
		.amdhsa_user_sgpr_dispatch_id 0
		.amdhsa_user_sgpr_flat_scratch_init 0
		.amdhsa_user_sgpr_private_segment_size 0
		.amdhsa_uses_dynamic_stack 0
		.amdhsa_system_sgpr_private_segment_wavefront_offset 1
		.amdhsa_system_sgpr_workgroup_id_x 1
		.amdhsa_system_sgpr_workgroup_id_y 0
		.amdhsa_system_sgpr_workgroup_id_z 0
		.amdhsa_system_sgpr_workgroup_info 0
		.amdhsa_system_vgpr_workitem_id 0
		.amdhsa_next_free_vgpr 38
		.amdhsa_next_free_sgpr 34
		.amdhsa_reserve_vcc 1
		.amdhsa_reserve_flat_scratch 0
		.amdhsa_float_round_mode_32 0
		.amdhsa_float_round_mode_16_64 0
		.amdhsa_float_denorm_mode_32 3
		.amdhsa_float_denorm_mode_16_64 3
		.amdhsa_dx10_clamp 1
		.amdhsa_ieee_mode 1
		.amdhsa_fp16_overflow 0
		.amdhsa_exception_fp_ieee_invalid_op 0
		.amdhsa_exception_fp_denorm_src 0
		.amdhsa_exception_fp_ieee_div_zero 0
		.amdhsa_exception_fp_ieee_overflow 0
		.amdhsa_exception_fp_ieee_underflow 0
		.amdhsa_exception_fp_ieee_inexact 0
		.amdhsa_exception_int_div_zero 0
	.end_amdhsa_kernel
	.section	.text._ZL9mul_mat_fI7__half2Li64ELi3ELi8ELb0EEvPKT_PKfPKiPfiiiiiiiiiiiiiiii,"axG",@progbits,_ZL9mul_mat_fI7__half2Li64ELi3ELi8ELb0EEvPKT_PKfPKiPfiiiiiiiiiiiiiiii,comdat
.Lfunc_end122:
	.size	_ZL9mul_mat_fI7__half2Li64ELi3ELi8ELb0EEvPKT_PKfPKiPfiiiiiiiiiiiiiiii, .Lfunc_end122-_ZL9mul_mat_fI7__half2Li64ELi3ELi8ELb0EEvPKT_PKfPKiPfiiiiiiiiiiiiiiii
                                        ; -- End function
	.set _ZL9mul_mat_fI7__half2Li64ELi3ELi8ELb0EEvPKT_PKfPKiPfiiiiiiiiiiiiiiii.num_vgpr, max(3, .L_ZL14no_device_codePKciS0_iS0_.num_vgpr)
	.set _ZL9mul_mat_fI7__half2Li64ELi3ELi8ELb0EEvPKT_PKfPKiPfiiiiiiiiiiiiiiii.num_agpr, max(0, .L_ZL14no_device_codePKciS0_iS0_.num_agpr)
	.set _ZL9mul_mat_fI7__half2Li64ELi3ELi8ELb0EEvPKT_PKfPKiPfiiiiiiiiiiiiiiii.numbered_sgpr, max(33, .L_ZL14no_device_codePKciS0_iS0_.numbered_sgpr)
	.set _ZL9mul_mat_fI7__half2Li64ELi3ELi8ELb0EEvPKT_PKfPKiPfiiiiiiiiiiiiiiii.num_named_barrier, max(0, .L_ZL14no_device_codePKciS0_iS0_.num_named_barrier)
	.set _ZL9mul_mat_fI7__half2Li64ELi3ELi8ELb0EEvPKT_PKfPKiPfiiiiiiiiiiiiiiii.private_seg_size, 0+max(.L_ZL14no_device_codePKciS0_iS0_.private_seg_size)
	.set _ZL9mul_mat_fI7__half2Li64ELi3ELi8ELb0EEvPKT_PKfPKiPfiiiiiiiiiiiiiiii.uses_vcc, or(1, .L_ZL14no_device_codePKciS0_iS0_.uses_vcc)
	.set _ZL9mul_mat_fI7__half2Li64ELi3ELi8ELb0EEvPKT_PKfPKiPfiiiiiiiiiiiiiiii.uses_flat_scratch, or(0, .L_ZL14no_device_codePKciS0_iS0_.uses_flat_scratch)
	.set _ZL9mul_mat_fI7__half2Li64ELi3ELi8ELb0EEvPKT_PKfPKiPfiiiiiiiiiiiiiiii.has_dyn_sized_stack, or(0, .L_ZL14no_device_codePKciS0_iS0_.has_dyn_sized_stack)
	.set _ZL9mul_mat_fI7__half2Li64ELi3ELi8ELb0EEvPKT_PKfPKiPfiiiiiiiiiiiiiiii.has_recursion, or(0, .L_ZL14no_device_codePKciS0_iS0_.has_recursion)
	.set _ZL9mul_mat_fI7__half2Li64ELi3ELi8ELb0EEvPKT_PKfPKiPfiiiiiiiiiiiiiiii.has_indirect_call, or(0, .L_ZL14no_device_codePKciS0_iS0_.has_indirect_call)
	.section	.AMDGPU.csdata,"",@progbits
; Kernel info:
; codeLenInByte = 84
; TotalNumSgprs: 38
; NumVgprs: 38
; ScratchSize: 16
; MemoryBound: 0
; FloatMode: 240
; IeeeMode: 1
; LDSByteSize: 0 bytes/workgroup (compile time only)
; SGPRBlocks: 4
; VGPRBlocks: 9
; NumSGPRsForWavesPerEU: 38
; NumVGPRsForWavesPerEU: 38
; Occupancy: 6
; WaveLimiterHint : 1
; COMPUTE_PGM_RSRC2:SCRATCH_EN: 1
; COMPUTE_PGM_RSRC2:USER_SGPR: 6
; COMPUTE_PGM_RSRC2:TRAP_HANDLER: 0
; COMPUTE_PGM_RSRC2:TGID_X_EN: 1
; COMPUTE_PGM_RSRC2:TGID_Y_EN: 0
; COMPUTE_PGM_RSRC2:TGID_Z_EN: 0
; COMPUTE_PGM_RSRC2:TIDIG_COMP_CNT: 0
	.section	.text._ZL13mul_mat_f_idsI15__hip_bfloat162Li64ELi3ELi1EEvPKT_PKfPKiS7_S7_Pfiiiiiiiiiiiiii15HIP_vector_typeIjLj3EESA_,"axG",@progbits,_ZL13mul_mat_f_idsI15__hip_bfloat162Li64ELi3ELi1EEvPKT_PKfPKiS7_S7_Pfiiiiiiiiiiiiii15HIP_vector_typeIjLj3EESA_,comdat
	.globl	_ZL13mul_mat_f_idsI15__hip_bfloat162Li64ELi3ELi1EEvPKT_PKfPKiS7_S7_Pfiiiiiiiiiiiiii15HIP_vector_typeIjLj3EESA_ ; -- Begin function _ZL13mul_mat_f_idsI15__hip_bfloat162Li64ELi3ELi1EEvPKT_PKfPKiS7_S7_Pfiiiiiiiiiiiiii15HIP_vector_typeIjLj3EESA_
	.p2align	8
	.type	_ZL13mul_mat_f_idsI15__hip_bfloat162Li64ELi3ELi1EEvPKT_PKfPKiS7_S7_Pfiiiiiiiiiiiiii15HIP_vector_typeIjLj3EESA_,@function
_ZL13mul_mat_f_idsI15__hip_bfloat162Li64ELi3ELi1EEvPKT_PKfPKiS7_S7_Pfiiiiiiiiiiiiii15HIP_vector_typeIjLj3EESA_: ; @_ZL13mul_mat_f_idsI15__hip_bfloat162Li64ELi3ELi1EEvPKT_PKfPKiS7_S7_Pfiiiiiiiiiiiiii15HIP_vector_typeIjLj3EESA_
; %bb.0:
	s_add_u32 s0, s0, s7
	s_addc_u32 s1, s1, 0
	s_add_u32 s8, s4, 0x80
	s_addc_u32 s9, s5, 0
	s_getpc_b64 s[4:5]
	s_add_u32 s4, s4, __FUNCTION__._ZL13mul_mat_f_idsIfLi32ELi3ELi1EEvPKT_PKfPKiS6_S6_Pfiiiiiiiiiiiiii15HIP_vector_typeIjLj3EES9_@rel32@lo+4
	s_addc_u32 s5, s5, __FUNCTION__._ZL13mul_mat_f_idsIfLi32ELi3ELi1EEvPKT_PKfPKiS6_S6_Pfiiiiiiiiiiiiii15HIP_vector_typeIjLj3EES9_@rel32@hi+12
	s_getpc_b64 s[6:7]
	s_add_u32 s6, s6, _ZL14no_device_codePKciS0_iS0_@rel32@lo+4
	s_addc_u32 s7, s7, _ZL14no_device_codePKciS0_iS0_@rel32@hi+12
	v_mov_b32_e32 v0, 0x238
	v_mov_b32_e32 v1, s4
	;; [unrolled: 1-line block ×3, first 2 shown]
	s_mov_b32 s32, 0
	s_swappc_b64 s[30:31], s[6:7]
	.section	.rodata,"a",@progbits
	.p2align	6, 0x0
	.amdhsa_kernel _ZL13mul_mat_f_idsI15__hip_bfloat162Li64ELi3ELi1EEvPKT_PKfPKiS7_S7_Pfiiiiiiiiiiiiii15HIP_vector_typeIjLj3EESA_
		.amdhsa_group_segment_fixed_size 0
		.amdhsa_private_segment_fixed_size 16
		.amdhsa_kernarg_size 384
		.amdhsa_user_sgpr_count 6
		.amdhsa_user_sgpr_private_segment_buffer 1
		.amdhsa_user_sgpr_dispatch_ptr 0
		.amdhsa_user_sgpr_queue_ptr 0
		.amdhsa_user_sgpr_kernarg_segment_ptr 1
		.amdhsa_user_sgpr_dispatch_id 0
		.amdhsa_user_sgpr_flat_scratch_init 0
		.amdhsa_user_sgpr_private_segment_size 0
		.amdhsa_uses_dynamic_stack 0
		.amdhsa_system_sgpr_private_segment_wavefront_offset 1
		.amdhsa_system_sgpr_workgroup_id_x 1
		.amdhsa_system_sgpr_workgroup_id_y 0
		.amdhsa_system_sgpr_workgroup_id_z 0
		.amdhsa_system_sgpr_workgroup_info 0
		.amdhsa_system_vgpr_workitem_id 0
		.amdhsa_next_free_vgpr 38
		.amdhsa_next_free_sgpr 34
		.amdhsa_reserve_vcc 1
		.amdhsa_reserve_flat_scratch 0
		.amdhsa_float_round_mode_32 0
		.amdhsa_float_round_mode_16_64 0
		.amdhsa_float_denorm_mode_32 3
		.amdhsa_float_denorm_mode_16_64 3
		.amdhsa_dx10_clamp 1
		.amdhsa_ieee_mode 1
		.amdhsa_fp16_overflow 0
		.amdhsa_exception_fp_ieee_invalid_op 0
		.amdhsa_exception_fp_denorm_src 0
		.amdhsa_exception_fp_ieee_div_zero 0
		.amdhsa_exception_fp_ieee_overflow 0
		.amdhsa_exception_fp_ieee_underflow 0
		.amdhsa_exception_fp_ieee_inexact 0
		.amdhsa_exception_int_div_zero 0
	.end_amdhsa_kernel
	.section	.text._ZL13mul_mat_f_idsI15__hip_bfloat162Li64ELi3ELi1EEvPKT_PKfPKiS7_S7_Pfiiiiiiiiiiiiii15HIP_vector_typeIjLj3EESA_,"axG",@progbits,_ZL13mul_mat_f_idsI15__hip_bfloat162Li64ELi3ELi1EEvPKT_PKfPKiS7_S7_Pfiiiiiiiiiiiiii15HIP_vector_typeIjLj3EESA_,comdat
.Lfunc_end123:
	.size	_ZL13mul_mat_f_idsI15__hip_bfloat162Li64ELi3ELi1EEvPKT_PKfPKiS7_S7_Pfiiiiiiiiiiiiii15HIP_vector_typeIjLj3EESA_, .Lfunc_end123-_ZL13mul_mat_f_idsI15__hip_bfloat162Li64ELi3ELi1EEvPKT_PKfPKiS7_S7_Pfiiiiiiiiiiiiii15HIP_vector_typeIjLj3EESA_
                                        ; -- End function
	.set _ZL13mul_mat_f_idsI15__hip_bfloat162Li64ELi3ELi1EEvPKT_PKfPKiS7_S7_Pfiiiiiiiiiiiiii15HIP_vector_typeIjLj3EESA_.num_vgpr, max(3, .L_ZL14no_device_codePKciS0_iS0_.num_vgpr)
	.set _ZL13mul_mat_f_idsI15__hip_bfloat162Li64ELi3ELi1EEvPKT_PKfPKiS7_S7_Pfiiiiiiiiiiiiii15HIP_vector_typeIjLj3EESA_.num_agpr, max(0, .L_ZL14no_device_codePKciS0_iS0_.num_agpr)
	.set _ZL13mul_mat_f_idsI15__hip_bfloat162Li64ELi3ELi1EEvPKT_PKfPKiS7_S7_Pfiiiiiiiiiiiiii15HIP_vector_typeIjLj3EESA_.numbered_sgpr, max(33, .L_ZL14no_device_codePKciS0_iS0_.numbered_sgpr)
	.set _ZL13mul_mat_f_idsI15__hip_bfloat162Li64ELi3ELi1EEvPKT_PKfPKiS7_S7_Pfiiiiiiiiiiiiii15HIP_vector_typeIjLj3EESA_.num_named_barrier, max(0, .L_ZL14no_device_codePKciS0_iS0_.num_named_barrier)
	.set _ZL13mul_mat_f_idsI15__hip_bfloat162Li64ELi3ELi1EEvPKT_PKfPKiS7_S7_Pfiiiiiiiiiiiiii15HIP_vector_typeIjLj3EESA_.private_seg_size, 0+max(.L_ZL14no_device_codePKciS0_iS0_.private_seg_size)
	.set _ZL13mul_mat_f_idsI15__hip_bfloat162Li64ELi3ELi1EEvPKT_PKfPKiS7_S7_Pfiiiiiiiiiiiiii15HIP_vector_typeIjLj3EESA_.uses_vcc, or(1, .L_ZL14no_device_codePKciS0_iS0_.uses_vcc)
	.set _ZL13mul_mat_f_idsI15__hip_bfloat162Li64ELi3ELi1EEvPKT_PKfPKiS7_S7_Pfiiiiiiiiiiiiii15HIP_vector_typeIjLj3EESA_.uses_flat_scratch, or(0, .L_ZL14no_device_codePKciS0_iS0_.uses_flat_scratch)
	.set _ZL13mul_mat_f_idsI15__hip_bfloat162Li64ELi3ELi1EEvPKT_PKfPKiS7_S7_Pfiiiiiiiiiiiiii15HIP_vector_typeIjLj3EESA_.has_dyn_sized_stack, or(0, .L_ZL14no_device_codePKciS0_iS0_.has_dyn_sized_stack)
	.set _ZL13mul_mat_f_idsI15__hip_bfloat162Li64ELi3ELi1EEvPKT_PKfPKiS7_S7_Pfiiiiiiiiiiiiii15HIP_vector_typeIjLj3EESA_.has_recursion, or(0, .L_ZL14no_device_codePKciS0_iS0_.has_recursion)
	.set _ZL13mul_mat_f_idsI15__hip_bfloat162Li64ELi3ELi1EEvPKT_PKfPKiS7_S7_Pfiiiiiiiiiiiiii15HIP_vector_typeIjLj3EESA_.has_indirect_call, or(0, .L_ZL14no_device_codePKciS0_iS0_.has_indirect_call)
	.section	.AMDGPU.csdata,"",@progbits
; Kernel info:
; codeLenInByte = 84
; TotalNumSgprs: 38
; NumVgprs: 38
; ScratchSize: 16
; MemoryBound: 0
; FloatMode: 240
; IeeeMode: 1
; LDSByteSize: 0 bytes/workgroup (compile time only)
; SGPRBlocks: 4
; VGPRBlocks: 9
; NumSGPRsForWavesPerEU: 38
; NumVGPRsForWavesPerEU: 38
; Occupancy: 6
; WaveLimiterHint : 1
; COMPUTE_PGM_RSRC2:SCRATCH_EN: 1
; COMPUTE_PGM_RSRC2:USER_SGPR: 6
; COMPUTE_PGM_RSRC2:TRAP_HANDLER: 0
; COMPUTE_PGM_RSRC2:TGID_X_EN: 1
; COMPUTE_PGM_RSRC2:TGID_Y_EN: 0
; COMPUTE_PGM_RSRC2:TGID_Z_EN: 0
; COMPUTE_PGM_RSRC2:TIDIG_COMP_CNT: 0
	.section	.text._ZL9mul_mat_fI15__hip_bfloat162Li64ELi3ELi1ELb1EEvPKT_PKfPKiPfiiiiiiiiiiiiiiii,"axG",@progbits,_ZL9mul_mat_fI15__hip_bfloat162Li64ELi3ELi1ELb1EEvPKT_PKfPKiPfiiiiiiiiiiiiiiii,comdat
	.globl	_ZL9mul_mat_fI15__hip_bfloat162Li64ELi3ELi1ELb1EEvPKT_PKfPKiPfiiiiiiiiiiiiiiii ; -- Begin function _ZL9mul_mat_fI15__hip_bfloat162Li64ELi3ELi1ELb1EEvPKT_PKfPKiPfiiiiiiiiiiiiiiii
	.p2align	8
	.type	_ZL9mul_mat_fI15__hip_bfloat162Li64ELi3ELi1ELb1EEvPKT_PKfPKiPfiiiiiiiiiiiiiiii,@function
_ZL9mul_mat_fI15__hip_bfloat162Li64ELi3ELi1ELb1EEvPKT_PKfPKiPfiiiiiiiiiiiiiiii: ; @_ZL9mul_mat_fI15__hip_bfloat162Li64ELi3ELi1ELb1EEvPKT_PKfPKiPfiiiiiiiiiiiiiiii
; %bb.0:
	s_add_u32 s0, s0, s7
	s_addc_u32 s1, s1, 0
	s_add_u32 s8, s4, 0x60
	s_addc_u32 s9, s5, 0
	s_getpc_b64 s[4:5]
	s_add_u32 s4, s4, __FUNCTION__._ZL9mul_mat_fIfLi32ELi3ELi1ELb1EEvPKT_PKfPKiPfiiiiiiiiiiiiiiii@rel32@lo+4
	s_addc_u32 s5, s5, __FUNCTION__._ZL9mul_mat_fIfLi32ELi3ELi1ELb1EEvPKT_PKfPKiPfiiiiiiiiiiiiiiii@rel32@hi+12
	s_getpc_b64 s[6:7]
	s_add_u32 s6, s6, _ZL14no_device_codePKciS0_iS0_@rel32@lo+4
	s_addc_u32 s7, s7, _ZL14no_device_codePKciS0_iS0_@rel32@hi+12
	v_mov_b32_e32 v0, 0x124
	v_mov_b32_e32 v1, s4
	;; [unrolled: 1-line block ×3, first 2 shown]
	s_mov_b32 s32, 0
	s_swappc_b64 s[30:31], s[6:7]
	.section	.rodata,"a",@progbits
	.p2align	6, 0x0
	.amdhsa_kernel _ZL9mul_mat_fI15__hip_bfloat162Li64ELi3ELi1ELb1EEvPKT_PKfPKiPfiiiiiiiiiiiiiiii
		.amdhsa_group_segment_fixed_size 0
		.amdhsa_private_segment_fixed_size 16
		.amdhsa_kernarg_size 352
		.amdhsa_user_sgpr_count 6
		.amdhsa_user_sgpr_private_segment_buffer 1
		.amdhsa_user_sgpr_dispatch_ptr 0
		.amdhsa_user_sgpr_queue_ptr 0
		.amdhsa_user_sgpr_kernarg_segment_ptr 1
		.amdhsa_user_sgpr_dispatch_id 0
		.amdhsa_user_sgpr_flat_scratch_init 0
		.amdhsa_user_sgpr_private_segment_size 0
		.amdhsa_uses_dynamic_stack 0
		.amdhsa_system_sgpr_private_segment_wavefront_offset 1
		.amdhsa_system_sgpr_workgroup_id_x 1
		.amdhsa_system_sgpr_workgroup_id_y 0
		.amdhsa_system_sgpr_workgroup_id_z 0
		.amdhsa_system_sgpr_workgroup_info 0
		.amdhsa_system_vgpr_workitem_id 0
		.amdhsa_next_free_vgpr 38
		.amdhsa_next_free_sgpr 34
		.amdhsa_reserve_vcc 1
		.amdhsa_reserve_flat_scratch 0
		.amdhsa_float_round_mode_32 0
		.amdhsa_float_round_mode_16_64 0
		.amdhsa_float_denorm_mode_32 3
		.amdhsa_float_denorm_mode_16_64 3
		.amdhsa_dx10_clamp 1
		.amdhsa_ieee_mode 1
		.amdhsa_fp16_overflow 0
		.amdhsa_exception_fp_ieee_invalid_op 0
		.amdhsa_exception_fp_denorm_src 0
		.amdhsa_exception_fp_ieee_div_zero 0
		.amdhsa_exception_fp_ieee_overflow 0
		.amdhsa_exception_fp_ieee_underflow 0
		.amdhsa_exception_fp_ieee_inexact 0
		.amdhsa_exception_int_div_zero 0
	.end_amdhsa_kernel
	.section	.text._ZL9mul_mat_fI15__hip_bfloat162Li64ELi3ELi1ELb1EEvPKT_PKfPKiPfiiiiiiiiiiiiiiii,"axG",@progbits,_ZL9mul_mat_fI15__hip_bfloat162Li64ELi3ELi1ELb1EEvPKT_PKfPKiPfiiiiiiiiiiiiiiii,comdat
.Lfunc_end124:
	.size	_ZL9mul_mat_fI15__hip_bfloat162Li64ELi3ELi1ELb1EEvPKT_PKfPKiPfiiiiiiiiiiiiiiii, .Lfunc_end124-_ZL9mul_mat_fI15__hip_bfloat162Li64ELi3ELi1ELb1EEvPKT_PKfPKiPfiiiiiiiiiiiiiiii
                                        ; -- End function
	.set _ZL9mul_mat_fI15__hip_bfloat162Li64ELi3ELi1ELb1EEvPKT_PKfPKiPfiiiiiiiiiiiiiiii.num_vgpr, max(3, .L_ZL14no_device_codePKciS0_iS0_.num_vgpr)
	.set _ZL9mul_mat_fI15__hip_bfloat162Li64ELi3ELi1ELb1EEvPKT_PKfPKiPfiiiiiiiiiiiiiiii.num_agpr, max(0, .L_ZL14no_device_codePKciS0_iS0_.num_agpr)
	.set _ZL9mul_mat_fI15__hip_bfloat162Li64ELi3ELi1ELb1EEvPKT_PKfPKiPfiiiiiiiiiiiiiiii.numbered_sgpr, max(33, .L_ZL14no_device_codePKciS0_iS0_.numbered_sgpr)
	.set _ZL9mul_mat_fI15__hip_bfloat162Li64ELi3ELi1ELb1EEvPKT_PKfPKiPfiiiiiiiiiiiiiiii.num_named_barrier, max(0, .L_ZL14no_device_codePKciS0_iS0_.num_named_barrier)
	.set _ZL9mul_mat_fI15__hip_bfloat162Li64ELi3ELi1ELb1EEvPKT_PKfPKiPfiiiiiiiiiiiiiiii.private_seg_size, 0+max(.L_ZL14no_device_codePKciS0_iS0_.private_seg_size)
	.set _ZL9mul_mat_fI15__hip_bfloat162Li64ELi3ELi1ELb1EEvPKT_PKfPKiPfiiiiiiiiiiiiiiii.uses_vcc, or(1, .L_ZL14no_device_codePKciS0_iS0_.uses_vcc)
	.set _ZL9mul_mat_fI15__hip_bfloat162Li64ELi3ELi1ELb1EEvPKT_PKfPKiPfiiiiiiiiiiiiiiii.uses_flat_scratch, or(0, .L_ZL14no_device_codePKciS0_iS0_.uses_flat_scratch)
	.set _ZL9mul_mat_fI15__hip_bfloat162Li64ELi3ELi1ELb1EEvPKT_PKfPKiPfiiiiiiiiiiiiiiii.has_dyn_sized_stack, or(0, .L_ZL14no_device_codePKciS0_iS0_.has_dyn_sized_stack)
	.set _ZL9mul_mat_fI15__hip_bfloat162Li64ELi3ELi1ELb1EEvPKT_PKfPKiPfiiiiiiiiiiiiiiii.has_recursion, or(0, .L_ZL14no_device_codePKciS0_iS0_.has_recursion)
	.set _ZL9mul_mat_fI15__hip_bfloat162Li64ELi3ELi1ELb1EEvPKT_PKfPKiPfiiiiiiiiiiiiiiii.has_indirect_call, or(0, .L_ZL14no_device_codePKciS0_iS0_.has_indirect_call)
	.section	.AMDGPU.csdata,"",@progbits
; Kernel info:
; codeLenInByte = 84
; TotalNumSgprs: 38
; NumVgprs: 38
; ScratchSize: 16
; MemoryBound: 0
; FloatMode: 240
; IeeeMode: 1
; LDSByteSize: 0 bytes/workgroup (compile time only)
; SGPRBlocks: 4
; VGPRBlocks: 9
; NumSGPRsForWavesPerEU: 38
; NumVGPRsForWavesPerEU: 38
; Occupancy: 6
; WaveLimiterHint : 1
; COMPUTE_PGM_RSRC2:SCRATCH_EN: 1
; COMPUTE_PGM_RSRC2:USER_SGPR: 6
; COMPUTE_PGM_RSRC2:TRAP_HANDLER: 0
; COMPUTE_PGM_RSRC2:TGID_X_EN: 1
; COMPUTE_PGM_RSRC2:TGID_Y_EN: 0
; COMPUTE_PGM_RSRC2:TGID_Z_EN: 0
; COMPUTE_PGM_RSRC2:TIDIG_COMP_CNT: 0
	.section	.text._ZL9mul_mat_fI15__hip_bfloat162Li64ELi3ELi1ELb0EEvPKT_PKfPKiPfiiiiiiiiiiiiiiii,"axG",@progbits,_ZL9mul_mat_fI15__hip_bfloat162Li64ELi3ELi1ELb0EEvPKT_PKfPKiPfiiiiiiiiiiiiiiii,comdat
	.globl	_ZL9mul_mat_fI15__hip_bfloat162Li64ELi3ELi1ELb0EEvPKT_PKfPKiPfiiiiiiiiiiiiiiii ; -- Begin function _ZL9mul_mat_fI15__hip_bfloat162Li64ELi3ELi1ELb0EEvPKT_PKfPKiPfiiiiiiiiiiiiiiii
	.p2align	8
	.type	_ZL9mul_mat_fI15__hip_bfloat162Li64ELi3ELi1ELb0EEvPKT_PKfPKiPfiiiiiiiiiiiiiiii,@function
_ZL9mul_mat_fI15__hip_bfloat162Li64ELi3ELi1ELb0EEvPKT_PKfPKiPfiiiiiiiiiiiiiiii: ; @_ZL9mul_mat_fI15__hip_bfloat162Li64ELi3ELi1ELb0EEvPKT_PKfPKiPfiiiiiiiiiiiiiiii
; %bb.0:
	s_add_u32 s0, s0, s7
	s_addc_u32 s1, s1, 0
	s_add_u32 s8, s4, 0x60
	s_addc_u32 s9, s5, 0
	s_getpc_b64 s[4:5]
	s_add_u32 s4, s4, __FUNCTION__._ZL9mul_mat_fIfLi32ELi3ELi1ELb1EEvPKT_PKfPKiPfiiiiiiiiiiiiiiii@rel32@lo+4
	s_addc_u32 s5, s5, __FUNCTION__._ZL9mul_mat_fIfLi32ELi3ELi1ELb1EEvPKT_PKfPKiPfiiiiiiiiiiiiiiii@rel32@hi+12
	s_getpc_b64 s[6:7]
	s_add_u32 s6, s6, _ZL14no_device_codePKciS0_iS0_@rel32@lo+4
	s_addc_u32 s7, s7, _ZL14no_device_codePKciS0_iS0_@rel32@hi+12
	v_mov_b32_e32 v0, 0x124
	v_mov_b32_e32 v1, s4
	v_mov_b32_e32 v2, s5
	s_mov_b32 s32, 0
	s_swappc_b64 s[30:31], s[6:7]
	.section	.rodata,"a",@progbits
	.p2align	6, 0x0
	.amdhsa_kernel _ZL9mul_mat_fI15__hip_bfloat162Li64ELi3ELi1ELb0EEvPKT_PKfPKiPfiiiiiiiiiiiiiiii
		.amdhsa_group_segment_fixed_size 0
		.amdhsa_private_segment_fixed_size 16
		.amdhsa_kernarg_size 352
		.amdhsa_user_sgpr_count 6
		.amdhsa_user_sgpr_private_segment_buffer 1
		.amdhsa_user_sgpr_dispatch_ptr 0
		.amdhsa_user_sgpr_queue_ptr 0
		.amdhsa_user_sgpr_kernarg_segment_ptr 1
		.amdhsa_user_sgpr_dispatch_id 0
		.amdhsa_user_sgpr_flat_scratch_init 0
		.amdhsa_user_sgpr_private_segment_size 0
		.amdhsa_uses_dynamic_stack 0
		.amdhsa_system_sgpr_private_segment_wavefront_offset 1
		.amdhsa_system_sgpr_workgroup_id_x 1
		.amdhsa_system_sgpr_workgroup_id_y 0
		.amdhsa_system_sgpr_workgroup_id_z 0
		.amdhsa_system_sgpr_workgroup_info 0
		.amdhsa_system_vgpr_workitem_id 0
		.amdhsa_next_free_vgpr 38
		.amdhsa_next_free_sgpr 34
		.amdhsa_reserve_vcc 1
		.amdhsa_reserve_flat_scratch 0
		.amdhsa_float_round_mode_32 0
		.amdhsa_float_round_mode_16_64 0
		.amdhsa_float_denorm_mode_32 3
		.amdhsa_float_denorm_mode_16_64 3
		.amdhsa_dx10_clamp 1
		.amdhsa_ieee_mode 1
		.amdhsa_fp16_overflow 0
		.amdhsa_exception_fp_ieee_invalid_op 0
		.amdhsa_exception_fp_denorm_src 0
		.amdhsa_exception_fp_ieee_div_zero 0
		.amdhsa_exception_fp_ieee_overflow 0
		.amdhsa_exception_fp_ieee_underflow 0
		.amdhsa_exception_fp_ieee_inexact 0
		.amdhsa_exception_int_div_zero 0
	.end_amdhsa_kernel
	.section	.text._ZL9mul_mat_fI15__hip_bfloat162Li64ELi3ELi1ELb0EEvPKT_PKfPKiPfiiiiiiiiiiiiiiii,"axG",@progbits,_ZL9mul_mat_fI15__hip_bfloat162Li64ELi3ELi1ELb0EEvPKT_PKfPKiPfiiiiiiiiiiiiiiii,comdat
.Lfunc_end125:
	.size	_ZL9mul_mat_fI15__hip_bfloat162Li64ELi3ELi1ELb0EEvPKT_PKfPKiPfiiiiiiiiiiiiiiii, .Lfunc_end125-_ZL9mul_mat_fI15__hip_bfloat162Li64ELi3ELi1ELb0EEvPKT_PKfPKiPfiiiiiiiiiiiiiiii
                                        ; -- End function
	.set _ZL9mul_mat_fI15__hip_bfloat162Li64ELi3ELi1ELb0EEvPKT_PKfPKiPfiiiiiiiiiiiiiiii.num_vgpr, max(3, .L_ZL14no_device_codePKciS0_iS0_.num_vgpr)
	.set _ZL9mul_mat_fI15__hip_bfloat162Li64ELi3ELi1ELb0EEvPKT_PKfPKiPfiiiiiiiiiiiiiiii.num_agpr, max(0, .L_ZL14no_device_codePKciS0_iS0_.num_agpr)
	.set _ZL9mul_mat_fI15__hip_bfloat162Li64ELi3ELi1ELb0EEvPKT_PKfPKiPfiiiiiiiiiiiiiiii.numbered_sgpr, max(33, .L_ZL14no_device_codePKciS0_iS0_.numbered_sgpr)
	.set _ZL9mul_mat_fI15__hip_bfloat162Li64ELi3ELi1ELb0EEvPKT_PKfPKiPfiiiiiiiiiiiiiiii.num_named_barrier, max(0, .L_ZL14no_device_codePKciS0_iS0_.num_named_barrier)
	.set _ZL9mul_mat_fI15__hip_bfloat162Li64ELi3ELi1ELb0EEvPKT_PKfPKiPfiiiiiiiiiiiiiiii.private_seg_size, 0+max(.L_ZL14no_device_codePKciS0_iS0_.private_seg_size)
	.set _ZL9mul_mat_fI15__hip_bfloat162Li64ELi3ELi1ELb0EEvPKT_PKfPKiPfiiiiiiiiiiiiiiii.uses_vcc, or(1, .L_ZL14no_device_codePKciS0_iS0_.uses_vcc)
	.set _ZL9mul_mat_fI15__hip_bfloat162Li64ELi3ELi1ELb0EEvPKT_PKfPKiPfiiiiiiiiiiiiiiii.uses_flat_scratch, or(0, .L_ZL14no_device_codePKciS0_iS0_.uses_flat_scratch)
	.set _ZL9mul_mat_fI15__hip_bfloat162Li64ELi3ELi1ELb0EEvPKT_PKfPKiPfiiiiiiiiiiiiiiii.has_dyn_sized_stack, or(0, .L_ZL14no_device_codePKciS0_iS0_.has_dyn_sized_stack)
	.set _ZL9mul_mat_fI15__hip_bfloat162Li64ELi3ELi1ELb0EEvPKT_PKfPKiPfiiiiiiiiiiiiiiii.has_recursion, or(0, .L_ZL14no_device_codePKciS0_iS0_.has_recursion)
	.set _ZL9mul_mat_fI15__hip_bfloat162Li64ELi3ELi1ELb0EEvPKT_PKfPKiPfiiiiiiiiiiiiiiii.has_indirect_call, or(0, .L_ZL14no_device_codePKciS0_iS0_.has_indirect_call)
	.section	.AMDGPU.csdata,"",@progbits
; Kernel info:
; codeLenInByte = 84
; TotalNumSgprs: 38
; NumVgprs: 38
; ScratchSize: 16
; MemoryBound: 0
; FloatMode: 240
; IeeeMode: 1
; LDSByteSize: 0 bytes/workgroup (compile time only)
; SGPRBlocks: 4
; VGPRBlocks: 9
; NumSGPRsForWavesPerEU: 38
; NumVGPRsForWavesPerEU: 38
; Occupancy: 6
; WaveLimiterHint : 1
; COMPUTE_PGM_RSRC2:SCRATCH_EN: 1
; COMPUTE_PGM_RSRC2:USER_SGPR: 6
; COMPUTE_PGM_RSRC2:TRAP_HANDLER: 0
; COMPUTE_PGM_RSRC2:TGID_X_EN: 1
; COMPUTE_PGM_RSRC2:TGID_Y_EN: 0
; COMPUTE_PGM_RSRC2:TGID_Z_EN: 0
; COMPUTE_PGM_RSRC2:TIDIG_COMP_CNT: 0
	.section	.text._ZL13mul_mat_f_idsI15__hip_bfloat162Li64ELi3ELi2EEvPKT_PKfPKiS7_S7_Pfiiiiiiiiiiiiii15HIP_vector_typeIjLj3EESA_,"axG",@progbits,_ZL13mul_mat_f_idsI15__hip_bfloat162Li64ELi3ELi2EEvPKT_PKfPKiS7_S7_Pfiiiiiiiiiiiiii15HIP_vector_typeIjLj3EESA_,comdat
	.globl	_ZL13mul_mat_f_idsI15__hip_bfloat162Li64ELi3ELi2EEvPKT_PKfPKiS7_S7_Pfiiiiiiiiiiiiii15HIP_vector_typeIjLj3EESA_ ; -- Begin function _ZL13mul_mat_f_idsI15__hip_bfloat162Li64ELi3ELi2EEvPKT_PKfPKiS7_S7_Pfiiiiiiiiiiiiii15HIP_vector_typeIjLj3EESA_
	.p2align	8
	.type	_ZL13mul_mat_f_idsI15__hip_bfloat162Li64ELi3ELi2EEvPKT_PKfPKiS7_S7_Pfiiiiiiiiiiiiii15HIP_vector_typeIjLj3EESA_,@function
_ZL13mul_mat_f_idsI15__hip_bfloat162Li64ELi3ELi2EEvPKT_PKfPKiS7_S7_Pfiiiiiiiiiiiiii15HIP_vector_typeIjLj3EESA_: ; @_ZL13mul_mat_f_idsI15__hip_bfloat162Li64ELi3ELi2EEvPKT_PKfPKiS7_S7_Pfiiiiiiiiiiiiii15HIP_vector_typeIjLj3EESA_
; %bb.0:
	s_add_u32 s0, s0, s7
	s_addc_u32 s1, s1, 0
	s_add_u32 s8, s4, 0x80
	s_addc_u32 s9, s5, 0
	s_getpc_b64 s[4:5]
	s_add_u32 s4, s4, __FUNCTION__._ZL13mul_mat_f_idsIfLi32ELi3ELi1EEvPKT_PKfPKiS6_S6_Pfiiiiiiiiiiiiii15HIP_vector_typeIjLj3EES9_@rel32@lo+4
	s_addc_u32 s5, s5, __FUNCTION__._ZL13mul_mat_f_idsIfLi32ELi3ELi1EEvPKT_PKfPKiS6_S6_Pfiiiiiiiiiiiiii15HIP_vector_typeIjLj3EES9_@rel32@hi+12
	s_getpc_b64 s[6:7]
	s_add_u32 s6, s6, _ZL14no_device_codePKciS0_iS0_@rel32@lo+4
	s_addc_u32 s7, s7, _ZL14no_device_codePKciS0_iS0_@rel32@hi+12
	v_mov_b32_e32 v0, 0x238
	v_mov_b32_e32 v1, s4
	;; [unrolled: 1-line block ×3, first 2 shown]
	s_mov_b32 s32, 0
	s_swappc_b64 s[30:31], s[6:7]
	.section	.rodata,"a",@progbits
	.p2align	6, 0x0
	.amdhsa_kernel _ZL13mul_mat_f_idsI15__hip_bfloat162Li64ELi3ELi2EEvPKT_PKfPKiS7_S7_Pfiiiiiiiiiiiiii15HIP_vector_typeIjLj3EESA_
		.amdhsa_group_segment_fixed_size 0
		.amdhsa_private_segment_fixed_size 16
		.amdhsa_kernarg_size 384
		.amdhsa_user_sgpr_count 6
		.amdhsa_user_sgpr_private_segment_buffer 1
		.amdhsa_user_sgpr_dispatch_ptr 0
		.amdhsa_user_sgpr_queue_ptr 0
		.amdhsa_user_sgpr_kernarg_segment_ptr 1
		.amdhsa_user_sgpr_dispatch_id 0
		.amdhsa_user_sgpr_flat_scratch_init 0
		.amdhsa_user_sgpr_private_segment_size 0
		.amdhsa_uses_dynamic_stack 0
		.amdhsa_system_sgpr_private_segment_wavefront_offset 1
		.amdhsa_system_sgpr_workgroup_id_x 1
		.amdhsa_system_sgpr_workgroup_id_y 0
		.amdhsa_system_sgpr_workgroup_id_z 0
		.amdhsa_system_sgpr_workgroup_info 0
		.amdhsa_system_vgpr_workitem_id 0
		.amdhsa_next_free_vgpr 38
		.amdhsa_next_free_sgpr 34
		.amdhsa_reserve_vcc 1
		.amdhsa_reserve_flat_scratch 0
		.amdhsa_float_round_mode_32 0
		.amdhsa_float_round_mode_16_64 0
		.amdhsa_float_denorm_mode_32 3
		.amdhsa_float_denorm_mode_16_64 3
		.amdhsa_dx10_clamp 1
		.amdhsa_ieee_mode 1
		.amdhsa_fp16_overflow 0
		.amdhsa_exception_fp_ieee_invalid_op 0
		.amdhsa_exception_fp_denorm_src 0
		.amdhsa_exception_fp_ieee_div_zero 0
		.amdhsa_exception_fp_ieee_overflow 0
		.amdhsa_exception_fp_ieee_underflow 0
		.amdhsa_exception_fp_ieee_inexact 0
		.amdhsa_exception_int_div_zero 0
	.end_amdhsa_kernel
	.section	.text._ZL13mul_mat_f_idsI15__hip_bfloat162Li64ELi3ELi2EEvPKT_PKfPKiS7_S7_Pfiiiiiiiiiiiiii15HIP_vector_typeIjLj3EESA_,"axG",@progbits,_ZL13mul_mat_f_idsI15__hip_bfloat162Li64ELi3ELi2EEvPKT_PKfPKiS7_S7_Pfiiiiiiiiiiiiii15HIP_vector_typeIjLj3EESA_,comdat
.Lfunc_end126:
	.size	_ZL13mul_mat_f_idsI15__hip_bfloat162Li64ELi3ELi2EEvPKT_PKfPKiS7_S7_Pfiiiiiiiiiiiiii15HIP_vector_typeIjLj3EESA_, .Lfunc_end126-_ZL13mul_mat_f_idsI15__hip_bfloat162Li64ELi3ELi2EEvPKT_PKfPKiS7_S7_Pfiiiiiiiiiiiiii15HIP_vector_typeIjLj3EESA_
                                        ; -- End function
	.set _ZL13mul_mat_f_idsI15__hip_bfloat162Li64ELi3ELi2EEvPKT_PKfPKiS7_S7_Pfiiiiiiiiiiiiii15HIP_vector_typeIjLj3EESA_.num_vgpr, max(3, .L_ZL14no_device_codePKciS0_iS0_.num_vgpr)
	.set _ZL13mul_mat_f_idsI15__hip_bfloat162Li64ELi3ELi2EEvPKT_PKfPKiS7_S7_Pfiiiiiiiiiiiiii15HIP_vector_typeIjLj3EESA_.num_agpr, max(0, .L_ZL14no_device_codePKciS0_iS0_.num_agpr)
	.set _ZL13mul_mat_f_idsI15__hip_bfloat162Li64ELi3ELi2EEvPKT_PKfPKiS7_S7_Pfiiiiiiiiiiiiii15HIP_vector_typeIjLj3EESA_.numbered_sgpr, max(33, .L_ZL14no_device_codePKciS0_iS0_.numbered_sgpr)
	.set _ZL13mul_mat_f_idsI15__hip_bfloat162Li64ELi3ELi2EEvPKT_PKfPKiS7_S7_Pfiiiiiiiiiiiiii15HIP_vector_typeIjLj3EESA_.num_named_barrier, max(0, .L_ZL14no_device_codePKciS0_iS0_.num_named_barrier)
	.set _ZL13mul_mat_f_idsI15__hip_bfloat162Li64ELi3ELi2EEvPKT_PKfPKiS7_S7_Pfiiiiiiiiiiiiii15HIP_vector_typeIjLj3EESA_.private_seg_size, 0+max(.L_ZL14no_device_codePKciS0_iS0_.private_seg_size)
	.set _ZL13mul_mat_f_idsI15__hip_bfloat162Li64ELi3ELi2EEvPKT_PKfPKiS7_S7_Pfiiiiiiiiiiiiii15HIP_vector_typeIjLj3EESA_.uses_vcc, or(1, .L_ZL14no_device_codePKciS0_iS0_.uses_vcc)
	.set _ZL13mul_mat_f_idsI15__hip_bfloat162Li64ELi3ELi2EEvPKT_PKfPKiS7_S7_Pfiiiiiiiiiiiiii15HIP_vector_typeIjLj3EESA_.uses_flat_scratch, or(0, .L_ZL14no_device_codePKciS0_iS0_.uses_flat_scratch)
	.set _ZL13mul_mat_f_idsI15__hip_bfloat162Li64ELi3ELi2EEvPKT_PKfPKiS7_S7_Pfiiiiiiiiiiiiii15HIP_vector_typeIjLj3EESA_.has_dyn_sized_stack, or(0, .L_ZL14no_device_codePKciS0_iS0_.has_dyn_sized_stack)
	.set _ZL13mul_mat_f_idsI15__hip_bfloat162Li64ELi3ELi2EEvPKT_PKfPKiS7_S7_Pfiiiiiiiiiiiiii15HIP_vector_typeIjLj3EESA_.has_recursion, or(0, .L_ZL14no_device_codePKciS0_iS0_.has_recursion)
	.set _ZL13mul_mat_f_idsI15__hip_bfloat162Li64ELi3ELi2EEvPKT_PKfPKiS7_S7_Pfiiiiiiiiiiiiii15HIP_vector_typeIjLj3EESA_.has_indirect_call, or(0, .L_ZL14no_device_codePKciS0_iS0_.has_indirect_call)
	.section	.AMDGPU.csdata,"",@progbits
; Kernel info:
; codeLenInByte = 84
; TotalNumSgprs: 38
; NumVgprs: 38
; ScratchSize: 16
; MemoryBound: 0
; FloatMode: 240
; IeeeMode: 1
; LDSByteSize: 0 bytes/workgroup (compile time only)
; SGPRBlocks: 4
; VGPRBlocks: 9
; NumSGPRsForWavesPerEU: 38
; NumVGPRsForWavesPerEU: 38
; Occupancy: 6
; WaveLimiterHint : 1
; COMPUTE_PGM_RSRC2:SCRATCH_EN: 1
; COMPUTE_PGM_RSRC2:USER_SGPR: 6
; COMPUTE_PGM_RSRC2:TRAP_HANDLER: 0
; COMPUTE_PGM_RSRC2:TGID_X_EN: 1
; COMPUTE_PGM_RSRC2:TGID_Y_EN: 0
; COMPUTE_PGM_RSRC2:TGID_Z_EN: 0
; COMPUTE_PGM_RSRC2:TIDIG_COMP_CNT: 0
	.section	.text._ZL9mul_mat_fI15__hip_bfloat162Li64ELi3ELi2ELb1EEvPKT_PKfPKiPfiiiiiiiiiiiiiiii,"axG",@progbits,_ZL9mul_mat_fI15__hip_bfloat162Li64ELi3ELi2ELb1EEvPKT_PKfPKiPfiiiiiiiiiiiiiiii,comdat
	.globl	_ZL9mul_mat_fI15__hip_bfloat162Li64ELi3ELi2ELb1EEvPKT_PKfPKiPfiiiiiiiiiiiiiiii ; -- Begin function _ZL9mul_mat_fI15__hip_bfloat162Li64ELi3ELi2ELb1EEvPKT_PKfPKiPfiiiiiiiiiiiiiiii
	.p2align	8
	.type	_ZL9mul_mat_fI15__hip_bfloat162Li64ELi3ELi2ELb1EEvPKT_PKfPKiPfiiiiiiiiiiiiiiii,@function
_ZL9mul_mat_fI15__hip_bfloat162Li64ELi3ELi2ELb1EEvPKT_PKfPKiPfiiiiiiiiiiiiiiii: ; @_ZL9mul_mat_fI15__hip_bfloat162Li64ELi3ELi2ELb1EEvPKT_PKfPKiPfiiiiiiiiiiiiiiii
; %bb.0:
	s_add_u32 s0, s0, s7
	s_addc_u32 s1, s1, 0
	s_add_u32 s8, s4, 0x60
	s_addc_u32 s9, s5, 0
	s_getpc_b64 s[4:5]
	s_add_u32 s4, s4, __FUNCTION__._ZL9mul_mat_fIfLi32ELi3ELi1ELb1EEvPKT_PKfPKiPfiiiiiiiiiiiiiiii@rel32@lo+4
	s_addc_u32 s5, s5, __FUNCTION__._ZL9mul_mat_fIfLi32ELi3ELi1ELb1EEvPKT_PKfPKiPfiiiiiiiiiiiiiiii@rel32@hi+12
	s_getpc_b64 s[6:7]
	s_add_u32 s6, s6, _ZL14no_device_codePKciS0_iS0_@rel32@lo+4
	s_addc_u32 s7, s7, _ZL14no_device_codePKciS0_iS0_@rel32@hi+12
	v_mov_b32_e32 v0, 0x124
	v_mov_b32_e32 v1, s4
	;; [unrolled: 1-line block ×3, first 2 shown]
	s_mov_b32 s32, 0
	s_swappc_b64 s[30:31], s[6:7]
	.section	.rodata,"a",@progbits
	.p2align	6, 0x0
	.amdhsa_kernel _ZL9mul_mat_fI15__hip_bfloat162Li64ELi3ELi2ELb1EEvPKT_PKfPKiPfiiiiiiiiiiiiiiii
		.amdhsa_group_segment_fixed_size 0
		.amdhsa_private_segment_fixed_size 16
		.amdhsa_kernarg_size 352
		.amdhsa_user_sgpr_count 6
		.amdhsa_user_sgpr_private_segment_buffer 1
		.amdhsa_user_sgpr_dispatch_ptr 0
		.amdhsa_user_sgpr_queue_ptr 0
		.amdhsa_user_sgpr_kernarg_segment_ptr 1
		.amdhsa_user_sgpr_dispatch_id 0
		.amdhsa_user_sgpr_flat_scratch_init 0
		.amdhsa_user_sgpr_private_segment_size 0
		.amdhsa_uses_dynamic_stack 0
		.amdhsa_system_sgpr_private_segment_wavefront_offset 1
		.amdhsa_system_sgpr_workgroup_id_x 1
		.amdhsa_system_sgpr_workgroup_id_y 0
		.amdhsa_system_sgpr_workgroup_id_z 0
		.amdhsa_system_sgpr_workgroup_info 0
		.amdhsa_system_vgpr_workitem_id 0
		.amdhsa_next_free_vgpr 38
		.amdhsa_next_free_sgpr 34
		.amdhsa_reserve_vcc 1
		.amdhsa_reserve_flat_scratch 0
		.amdhsa_float_round_mode_32 0
		.amdhsa_float_round_mode_16_64 0
		.amdhsa_float_denorm_mode_32 3
		.amdhsa_float_denorm_mode_16_64 3
		.amdhsa_dx10_clamp 1
		.amdhsa_ieee_mode 1
		.amdhsa_fp16_overflow 0
		.amdhsa_exception_fp_ieee_invalid_op 0
		.amdhsa_exception_fp_denorm_src 0
		.amdhsa_exception_fp_ieee_div_zero 0
		.amdhsa_exception_fp_ieee_overflow 0
		.amdhsa_exception_fp_ieee_underflow 0
		.amdhsa_exception_fp_ieee_inexact 0
		.amdhsa_exception_int_div_zero 0
	.end_amdhsa_kernel
	.section	.text._ZL9mul_mat_fI15__hip_bfloat162Li64ELi3ELi2ELb1EEvPKT_PKfPKiPfiiiiiiiiiiiiiiii,"axG",@progbits,_ZL9mul_mat_fI15__hip_bfloat162Li64ELi3ELi2ELb1EEvPKT_PKfPKiPfiiiiiiiiiiiiiiii,comdat
.Lfunc_end127:
	.size	_ZL9mul_mat_fI15__hip_bfloat162Li64ELi3ELi2ELb1EEvPKT_PKfPKiPfiiiiiiiiiiiiiiii, .Lfunc_end127-_ZL9mul_mat_fI15__hip_bfloat162Li64ELi3ELi2ELb1EEvPKT_PKfPKiPfiiiiiiiiiiiiiiii
                                        ; -- End function
	.set _ZL9mul_mat_fI15__hip_bfloat162Li64ELi3ELi2ELb1EEvPKT_PKfPKiPfiiiiiiiiiiiiiiii.num_vgpr, max(3, .L_ZL14no_device_codePKciS0_iS0_.num_vgpr)
	.set _ZL9mul_mat_fI15__hip_bfloat162Li64ELi3ELi2ELb1EEvPKT_PKfPKiPfiiiiiiiiiiiiiiii.num_agpr, max(0, .L_ZL14no_device_codePKciS0_iS0_.num_agpr)
	.set _ZL9mul_mat_fI15__hip_bfloat162Li64ELi3ELi2ELb1EEvPKT_PKfPKiPfiiiiiiiiiiiiiiii.numbered_sgpr, max(33, .L_ZL14no_device_codePKciS0_iS0_.numbered_sgpr)
	.set _ZL9mul_mat_fI15__hip_bfloat162Li64ELi3ELi2ELb1EEvPKT_PKfPKiPfiiiiiiiiiiiiiiii.num_named_barrier, max(0, .L_ZL14no_device_codePKciS0_iS0_.num_named_barrier)
	.set _ZL9mul_mat_fI15__hip_bfloat162Li64ELi3ELi2ELb1EEvPKT_PKfPKiPfiiiiiiiiiiiiiiii.private_seg_size, 0+max(.L_ZL14no_device_codePKciS0_iS0_.private_seg_size)
	.set _ZL9mul_mat_fI15__hip_bfloat162Li64ELi3ELi2ELb1EEvPKT_PKfPKiPfiiiiiiiiiiiiiiii.uses_vcc, or(1, .L_ZL14no_device_codePKciS0_iS0_.uses_vcc)
	.set _ZL9mul_mat_fI15__hip_bfloat162Li64ELi3ELi2ELb1EEvPKT_PKfPKiPfiiiiiiiiiiiiiiii.uses_flat_scratch, or(0, .L_ZL14no_device_codePKciS0_iS0_.uses_flat_scratch)
	.set _ZL9mul_mat_fI15__hip_bfloat162Li64ELi3ELi2ELb1EEvPKT_PKfPKiPfiiiiiiiiiiiiiiii.has_dyn_sized_stack, or(0, .L_ZL14no_device_codePKciS0_iS0_.has_dyn_sized_stack)
	.set _ZL9mul_mat_fI15__hip_bfloat162Li64ELi3ELi2ELb1EEvPKT_PKfPKiPfiiiiiiiiiiiiiiii.has_recursion, or(0, .L_ZL14no_device_codePKciS0_iS0_.has_recursion)
	.set _ZL9mul_mat_fI15__hip_bfloat162Li64ELi3ELi2ELb1EEvPKT_PKfPKiPfiiiiiiiiiiiiiiii.has_indirect_call, or(0, .L_ZL14no_device_codePKciS0_iS0_.has_indirect_call)
	.section	.AMDGPU.csdata,"",@progbits
; Kernel info:
; codeLenInByte = 84
; TotalNumSgprs: 38
; NumVgprs: 38
; ScratchSize: 16
; MemoryBound: 0
; FloatMode: 240
; IeeeMode: 1
; LDSByteSize: 0 bytes/workgroup (compile time only)
; SGPRBlocks: 4
; VGPRBlocks: 9
; NumSGPRsForWavesPerEU: 38
; NumVGPRsForWavesPerEU: 38
; Occupancy: 6
; WaveLimiterHint : 1
; COMPUTE_PGM_RSRC2:SCRATCH_EN: 1
; COMPUTE_PGM_RSRC2:USER_SGPR: 6
; COMPUTE_PGM_RSRC2:TRAP_HANDLER: 0
; COMPUTE_PGM_RSRC2:TGID_X_EN: 1
; COMPUTE_PGM_RSRC2:TGID_Y_EN: 0
; COMPUTE_PGM_RSRC2:TGID_Z_EN: 0
; COMPUTE_PGM_RSRC2:TIDIG_COMP_CNT: 0
	.section	.text._ZL9mul_mat_fI15__hip_bfloat162Li64ELi3ELi2ELb0EEvPKT_PKfPKiPfiiiiiiiiiiiiiiii,"axG",@progbits,_ZL9mul_mat_fI15__hip_bfloat162Li64ELi3ELi2ELb0EEvPKT_PKfPKiPfiiiiiiiiiiiiiiii,comdat
	.globl	_ZL9mul_mat_fI15__hip_bfloat162Li64ELi3ELi2ELb0EEvPKT_PKfPKiPfiiiiiiiiiiiiiiii ; -- Begin function _ZL9mul_mat_fI15__hip_bfloat162Li64ELi3ELi2ELb0EEvPKT_PKfPKiPfiiiiiiiiiiiiiiii
	.p2align	8
	.type	_ZL9mul_mat_fI15__hip_bfloat162Li64ELi3ELi2ELb0EEvPKT_PKfPKiPfiiiiiiiiiiiiiiii,@function
_ZL9mul_mat_fI15__hip_bfloat162Li64ELi3ELi2ELb0EEvPKT_PKfPKiPfiiiiiiiiiiiiiiii: ; @_ZL9mul_mat_fI15__hip_bfloat162Li64ELi3ELi2ELb0EEvPKT_PKfPKiPfiiiiiiiiiiiiiiii
; %bb.0:
	s_add_u32 s0, s0, s7
	s_addc_u32 s1, s1, 0
	s_add_u32 s8, s4, 0x60
	s_addc_u32 s9, s5, 0
	s_getpc_b64 s[4:5]
	s_add_u32 s4, s4, __FUNCTION__._ZL9mul_mat_fIfLi32ELi3ELi1ELb1EEvPKT_PKfPKiPfiiiiiiiiiiiiiiii@rel32@lo+4
	s_addc_u32 s5, s5, __FUNCTION__._ZL9mul_mat_fIfLi32ELi3ELi1ELb1EEvPKT_PKfPKiPfiiiiiiiiiiiiiiii@rel32@hi+12
	s_getpc_b64 s[6:7]
	s_add_u32 s6, s6, _ZL14no_device_codePKciS0_iS0_@rel32@lo+4
	s_addc_u32 s7, s7, _ZL14no_device_codePKciS0_iS0_@rel32@hi+12
	v_mov_b32_e32 v0, 0x124
	v_mov_b32_e32 v1, s4
	;; [unrolled: 1-line block ×3, first 2 shown]
	s_mov_b32 s32, 0
	s_swappc_b64 s[30:31], s[6:7]
	.section	.rodata,"a",@progbits
	.p2align	6, 0x0
	.amdhsa_kernel _ZL9mul_mat_fI15__hip_bfloat162Li64ELi3ELi2ELb0EEvPKT_PKfPKiPfiiiiiiiiiiiiiiii
		.amdhsa_group_segment_fixed_size 0
		.amdhsa_private_segment_fixed_size 16
		.amdhsa_kernarg_size 352
		.amdhsa_user_sgpr_count 6
		.amdhsa_user_sgpr_private_segment_buffer 1
		.amdhsa_user_sgpr_dispatch_ptr 0
		.amdhsa_user_sgpr_queue_ptr 0
		.amdhsa_user_sgpr_kernarg_segment_ptr 1
		.amdhsa_user_sgpr_dispatch_id 0
		.amdhsa_user_sgpr_flat_scratch_init 0
		.amdhsa_user_sgpr_private_segment_size 0
		.amdhsa_uses_dynamic_stack 0
		.amdhsa_system_sgpr_private_segment_wavefront_offset 1
		.amdhsa_system_sgpr_workgroup_id_x 1
		.amdhsa_system_sgpr_workgroup_id_y 0
		.amdhsa_system_sgpr_workgroup_id_z 0
		.amdhsa_system_sgpr_workgroup_info 0
		.amdhsa_system_vgpr_workitem_id 0
		.amdhsa_next_free_vgpr 38
		.amdhsa_next_free_sgpr 34
		.amdhsa_reserve_vcc 1
		.amdhsa_reserve_flat_scratch 0
		.amdhsa_float_round_mode_32 0
		.amdhsa_float_round_mode_16_64 0
		.amdhsa_float_denorm_mode_32 3
		.amdhsa_float_denorm_mode_16_64 3
		.amdhsa_dx10_clamp 1
		.amdhsa_ieee_mode 1
		.amdhsa_fp16_overflow 0
		.amdhsa_exception_fp_ieee_invalid_op 0
		.amdhsa_exception_fp_denorm_src 0
		.amdhsa_exception_fp_ieee_div_zero 0
		.amdhsa_exception_fp_ieee_overflow 0
		.amdhsa_exception_fp_ieee_underflow 0
		.amdhsa_exception_fp_ieee_inexact 0
		.amdhsa_exception_int_div_zero 0
	.end_amdhsa_kernel
	.section	.text._ZL9mul_mat_fI15__hip_bfloat162Li64ELi3ELi2ELb0EEvPKT_PKfPKiPfiiiiiiiiiiiiiiii,"axG",@progbits,_ZL9mul_mat_fI15__hip_bfloat162Li64ELi3ELi2ELb0EEvPKT_PKfPKiPfiiiiiiiiiiiiiiii,comdat
.Lfunc_end128:
	.size	_ZL9mul_mat_fI15__hip_bfloat162Li64ELi3ELi2ELb0EEvPKT_PKfPKiPfiiiiiiiiiiiiiiii, .Lfunc_end128-_ZL9mul_mat_fI15__hip_bfloat162Li64ELi3ELi2ELb0EEvPKT_PKfPKiPfiiiiiiiiiiiiiiii
                                        ; -- End function
	.set _ZL9mul_mat_fI15__hip_bfloat162Li64ELi3ELi2ELb0EEvPKT_PKfPKiPfiiiiiiiiiiiiiiii.num_vgpr, max(3, .L_ZL14no_device_codePKciS0_iS0_.num_vgpr)
	.set _ZL9mul_mat_fI15__hip_bfloat162Li64ELi3ELi2ELb0EEvPKT_PKfPKiPfiiiiiiiiiiiiiiii.num_agpr, max(0, .L_ZL14no_device_codePKciS0_iS0_.num_agpr)
	.set _ZL9mul_mat_fI15__hip_bfloat162Li64ELi3ELi2ELb0EEvPKT_PKfPKiPfiiiiiiiiiiiiiiii.numbered_sgpr, max(33, .L_ZL14no_device_codePKciS0_iS0_.numbered_sgpr)
	.set _ZL9mul_mat_fI15__hip_bfloat162Li64ELi3ELi2ELb0EEvPKT_PKfPKiPfiiiiiiiiiiiiiiii.num_named_barrier, max(0, .L_ZL14no_device_codePKciS0_iS0_.num_named_barrier)
	.set _ZL9mul_mat_fI15__hip_bfloat162Li64ELi3ELi2ELb0EEvPKT_PKfPKiPfiiiiiiiiiiiiiiii.private_seg_size, 0+max(.L_ZL14no_device_codePKciS0_iS0_.private_seg_size)
	.set _ZL9mul_mat_fI15__hip_bfloat162Li64ELi3ELi2ELb0EEvPKT_PKfPKiPfiiiiiiiiiiiiiiii.uses_vcc, or(1, .L_ZL14no_device_codePKciS0_iS0_.uses_vcc)
	.set _ZL9mul_mat_fI15__hip_bfloat162Li64ELi3ELi2ELb0EEvPKT_PKfPKiPfiiiiiiiiiiiiiiii.uses_flat_scratch, or(0, .L_ZL14no_device_codePKciS0_iS0_.uses_flat_scratch)
	.set _ZL9mul_mat_fI15__hip_bfloat162Li64ELi3ELi2ELb0EEvPKT_PKfPKiPfiiiiiiiiiiiiiiii.has_dyn_sized_stack, or(0, .L_ZL14no_device_codePKciS0_iS0_.has_dyn_sized_stack)
	.set _ZL9mul_mat_fI15__hip_bfloat162Li64ELi3ELi2ELb0EEvPKT_PKfPKiPfiiiiiiiiiiiiiiii.has_recursion, or(0, .L_ZL14no_device_codePKciS0_iS0_.has_recursion)
	.set _ZL9mul_mat_fI15__hip_bfloat162Li64ELi3ELi2ELb0EEvPKT_PKfPKiPfiiiiiiiiiiiiiiii.has_indirect_call, or(0, .L_ZL14no_device_codePKciS0_iS0_.has_indirect_call)
	.section	.AMDGPU.csdata,"",@progbits
; Kernel info:
; codeLenInByte = 84
; TotalNumSgprs: 38
; NumVgprs: 38
; ScratchSize: 16
; MemoryBound: 0
; FloatMode: 240
; IeeeMode: 1
; LDSByteSize: 0 bytes/workgroup (compile time only)
; SGPRBlocks: 4
; VGPRBlocks: 9
; NumSGPRsForWavesPerEU: 38
; NumVGPRsForWavesPerEU: 38
; Occupancy: 6
; WaveLimiterHint : 1
; COMPUTE_PGM_RSRC2:SCRATCH_EN: 1
; COMPUTE_PGM_RSRC2:USER_SGPR: 6
; COMPUTE_PGM_RSRC2:TRAP_HANDLER: 0
; COMPUTE_PGM_RSRC2:TGID_X_EN: 1
; COMPUTE_PGM_RSRC2:TGID_Y_EN: 0
; COMPUTE_PGM_RSRC2:TGID_Z_EN: 0
; COMPUTE_PGM_RSRC2:TIDIG_COMP_CNT: 0
	.section	.text._ZL13mul_mat_f_idsI15__hip_bfloat162Li64ELi3ELi3EEvPKT_PKfPKiS7_S7_Pfiiiiiiiiiiiiii15HIP_vector_typeIjLj3EESA_,"axG",@progbits,_ZL13mul_mat_f_idsI15__hip_bfloat162Li64ELi3ELi3EEvPKT_PKfPKiS7_S7_Pfiiiiiiiiiiiiii15HIP_vector_typeIjLj3EESA_,comdat
	.globl	_ZL13mul_mat_f_idsI15__hip_bfloat162Li64ELi3ELi3EEvPKT_PKfPKiS7_S7_Pfiiiiiiiiiiiiii15HIP_vector_typeIjLj3EESA_ ; -- Begin function _ZL13mul_mat_f_idsI15__hip_bfloat162Li64ELi3ELi3EEvPKT_PKfPKiS7_S7_Pfiiiiiiiiiiiiii15HIP_vector_typeIjLj3EESA_
	.p2align	8
	.type	_ZL13mul_mat_f_idsI15__hip_bfloat162Li64ELi3ELi3EEvPKT_PKfPKiS7_S7_Pfiiiiiiiiiiiiii15HIP_vector_typeIjLj3EESA_,@function
_ZL13mul_mat_f_idsI15__hip_bfloat162Li64ELi3ELi3EEvPKT_PKfPKiS7_S7_Pfiiiiiiiiiiiiii15HIP_vector_typeIjLj3EESA_: ; @_ZL13mul_mat_f_idsI15__hip_bfloat162Li64ELi3ELi3EEvPKT_PKfPKiS7_S7_Pfiiiiiiiiiiiiii15HIP_vector_typeIjLj3EESA_
; %bb.0:
	s_add_u32 s0, s0, s7
	s_addc_u32 s1, s1, 0
	s_add_u32 s8, s4, 0x80
	s_addc_u32 s9, s5, 0
	s_getpc_b64 s[4:5]
	s_add_u32 s4, s4, __FUNCTION__._ZL13mul_mat_f_idsIfLi32ELi3ELi1EEvPKT_PKfPKiS6_S6_Pfiiiiiiiiiiiiii15HIP_vector_typeIjLj3EES9_@rel32@lo+4
	s_addc_u32 s5, s5, __FUNCTION__._ZL13mul_mat_f_idsIfLi32ELi3ELi1EEvPKT_PKfPKiS6_S6_Pfiiiiiiiiiiiiii15HIP_vector_typeIjLj3EES9_@rel32@hi+12
	s_getpc_b64 s[6:7]
	s_add_u32 s6, s6, _ZL14no_device_codePKciS0_iS0_@rel32@lo+4
	s_addc_u32 s7, s7, _ZL14no_device_codePKciS0_iS0_@rel32@hi+12
	v_mov_b32_e32 v0, 0x238
	v_mov_b32_e32 v1, s4
	;; [unrolled: 1-line block ×3, first 2 shown]
	s_mov_b32 s32, 0
	s_swappc_b64 s[30:31], s[6:7]
	.section	.rodata,"a",@progbits
	.p2align	6, 0x0
	.amdhsa_kernel _ZL13mul_mat_f_idsI15__hip_bfloat162Li64ELi3ELi3EEvPKT_PKfPKiS7_S7_Pfiiiiiiiiiiiiii15HIP_vector_typeIjLj3EESA_
		.amdhsa_group_segment_fixed_size 0
		.amdhsa_private_segment_fixed_size 16
		.amdhsa_kernarg_size 384
		.amdhsa_user_sgpr_count 6
		.amdhsa_user_sgpr_private_segment_buffer 1
		.amdhsa_user_sgpr_dispatch_ptr 0
		.amdhsa_user_sgpr_queue_ptr 0
		.amdhsa_user_sgpr_kernarg_segment_ptr 1
		.amdhsa_user_sgpr_dispatch_id 0
		.amdhsa_user_sgpr_flat_scratch_init 0
		.amdhsa_user_sgpr_private_segment_size 0
		.amdhsa_uses_dynamic_stack 0
		.amdhsa_system_sgpr_private_segment_wavefront_offset 1
		.amdhsa_system_sgpr_workgroup_id_x 1
		.amdhsa_system_sgpr_workgroup_id_y 0
		.amdhsa_system_sgpr_workgroup_id_z 0
		.amdhsa_system_sgpr_workgroup_info 0
		.amdhsa_system_vgpr_workitem_id 0
		.amdhsa_next_free_vgpr 38
		.amdhsa_next_free_sgpr 34
		.amdhsa_reserve_vcc 1
		.amdhsa_reserve_flat_scratch 0
		.amdhsa_float_round_mode_32 0
		.amdhsa_float_round_mode_16_64 0
		.amdhsa_float_denorm_mode_32 3
		.amdhsa_float_denorm_mode_16_64 3
		.amdhsa_dx10_clamp 1
		.amdhsa_ieee_mode 1
		.amdhsa_fp16_overflow 0
		.amdhsa_exception_fp_ieee_invalid_op 0
		.amdhsa_exception_fp_denorm_src 0
		.amdhsa_exception_fp_ieee_div_zero 0
		.amdhsa_exception_fp_ieee_overflow 0
		.amdhsa_exception_fp_ieee_underflow 0
		.amdhsa_exception_fp_ieee_inexact 0
		.amdhsa_exception_int_div_zero 0
	.end_amdhsa_kernel
	.section	.text._ZL13mul_mat_f_idsI15__hip_bfloat162Li64ELi3ELi3EEvPKT_PKfPKiS7_S7_Pfiiiiiiiiiiiiii15HIP_vector_typeIjLj3EESA_,"axG",@progbits,_ZL13mul_mat_f_idsI15__hip_bfloat162Li64ELi3ELi3EEvPKT_PKfPKiS7_S7_Pfiiiiiiiiiiiiii15HIP_vector_typeIjLj3EESA_,comdat
.Lfunc_end129:
	.size	_ZL13mul_mat_f_idsI15__hip_bfloat162Li64ELi3ELi3EEvPKT_PKfPKiS7_S7_Pfiiiiiiiiiiiiii15HIP_vector_typeIjLj3EESA_, .Lfunc_end129-_ZL13mul_mat_f_idsI15__hip_bfloat162Li64ELi3ELi3EEvPKT_PKfPKiS7_S7_Pfiiiiiiiiiiiiii15HIP_vector_typeIjLj3EESA_
                                        ; -- End function
	.set _ZL13mul_mat_f_idsI15__hip_bfloat162Li64ELi3ELi3EEvPKT_PKfPKiS7_S7_Pfiiiiiiiiiiiiii15HIP_vector_typeIjLj3EESA_.num_vgpr, max(3, .L_ZL14no_device_codePKciS0_iS0_.num_vgpr)
	.set _ZL13mul_mat_f_idsI15__hip_bfloat162Li64ELi3ELi3EEvPKT_PKfPKiS7_S7_Pfiiiiiiiiiiiiii15HIP_vector_typeIjLj3EESA_.num_agpr, max(0, .L_ZL14no_device_codePKciS0_iS0_.num_agpr)
	.set _ZL13mul_mat_f_idsI15__hip_bfloat162Li64ELi3ELi3EEvPKT_PKfPKiS7_S7_Pfiiiiiiiiiiiiii15HIP_vector_typeIjLj3EESA_.numbered_sgpr, max(33, .L_ZL14no_device_codePKciS0_iS0_.numbered_sgpr)
	.set _ZL13mul_mat_f_idsI15__hip_bfloat162Li64ELi3ELi3EEvPKT_PKfPKiS7_S7_Pfiiiiiiiiiiiiii15HIP_vector_typeIjLj3EESA_.num_named_barrier, max(0, .L_ZL14no_device_codePKciS0_iS0_.num_named_barrier)
	.set _ZL13mul_mat_f_idsI15__hip_bfloat162Li64ELi3ELi3EEvPKT_PKfPKiS7_S7_Pfiiiiiiiiiiiiii15HIP_vector_typeIjLj3EESA_.private_seg_size, 0+max(.L_ZL14no_device_codePKciS0_iS0_.private_seg_size)
	.set _ZL13mul_mat_f_idsI15__hip_bfloat162Li64ELi3ELi3EEvPKT_PKfPKiS7_S7_Pfiiiiiiiiiiiiii15HIP_vector_typeIjLj3EESA_.uses_vcc, or(1, .L_ZL14no_device_codePKciS0_iS0_.uses_vcc)
	.set _ZL13mul_mat_f_idsI15__hip_bfloat162Li64ELi3ELi3EEvPKT_PKfPKiS7_S7_Pfiiiiiiiiiiiiii15HIP_vector_typeIjLj3EESA_.uses_flat_scratch, or(0, .L_ZL14no_device_codePKciS0_iS0_.uses_flat_scratch)
	.set _ZL13mul_mat_f_idsI15__hip_bfloat162Li64ELi3ELi3EEvPKT_PKfPKiS7_S7_Pfiiiiiiiiiiiiii15HIP_vector_typeIjLj3EESA_.has_dyn_sized_stack, or(0, .L_ZL14no_device_codePKciS0_iS0_.has_dyn_sized_stack)
	.set _ZL13mul_mat_f_idsI15__hip_bfloat162Li64ELi3ELi3EEvPKT_PKfPKiS7_S7_Pfiiiiiiiiiiiiii15HIP_vector_typeIjLj3EESA_.has_recursion, or(0, .L_ZL14no_device_codePKciS0_iS0_.has_recursion)
	.set _ZL13mul_mat_f_idsI15__hip_bfloat162Li64ELi3ELi3EEvPKT_PKfPKiS7_S7_Pfiiiiiiiiiiiiii15HIP_vector_typeIjLj3EESA_.has_indirect_call, or(0, .L_ZL14no_device_codePKciS0_iS0_.has_indirect_call)
	.section	.AMDGPU.csdata,"",@progbits
; Kernel info:
; codeLenInByte = 84
; TotalNumSgprs: 38
; NumVgprs: 38
; ScratchSize: 16
; MemoryBound: 0
; FloatMode: 240
; IeeeMode: 1
; LDSByteSize: 0 bytes/workgroup (compile time only)
; SGPRBlocks: 4
; VGPRBlocks: 9
; NumSGPRsForWavesPerEU: 38
; NumVGPRsForWavesPerEU: 38
; Occupancy: 6
; WaveLimiterHint : 1
; COMPUTE_PGM_RSRC2:SCRATCH_EN: 1
; COMPUTE_PGM_RSRC2:USER_SGPR: 6
; COMPUTE_PGM_RSRC2:TRAP_HANDLER: 0
; COMPUTE_PGM_RSRC2:TGID_X_EN: 1
; COMPUTE_PGM_RSRC2:TGID_Y_EN: 0
; COMPUTE_PGM_RSRC2:TGID_Z_EN: 0
; COMPUTE_PGM_RSRC2:TIDIG_COMP_CNT: 0
	.section	.text._ZL9mul_mat_fI15__hip_bfloat162Li64ELi3ELi3ELb1EEvPKT_PKfPKiPfiiiiiiiiiiiiiiii,"axG",@progbits,_ZL9mul_mat_fI15__hip_bfloat162Li64ELi3ELi3ELb1EEvPKT_PKfPKiPfiiiiiiiiiiiiiiii,comdat
	.globl	_ZL9mul_mat_fI15__hip_bfloat162Li64ELi3ELi3ELb1EEvPKT_PKfPKiPfiiiiiiiiiiiiiiii ; -- Begin function _ZL9mul_mat_fI15__hip_bfloat162Li64ELi3ELi3ELb1EEvPKT_PKfPKiPfiiiiiiiiiiiiiiii
	.p2align	8
	.type	_ZL9mul_mat_fI15__hip_bfloat162Li64ELi3ELi3ELb1EEvPKT_PKfPKiPfiiiiiiiiiiiiiiii,@function
_ZL9mul_mat_fI15__hip_bfloat162Li64ELi3ELi3ELb1EEvPKT_PKfPKiPfiiiiiiiiiiiiiiii: ; @_ZL9mul_mat_fI15__hip_bfloat162Li64ELi3ELi3ELb1EEvPKT_PKfPKiPfiiiiiiiiiiiiiiii
; %bb.0:
	s_add_u32 s0, s0, s7
	s_addc_u32 s1, s1, 0
	s_add_u32 s8, s4, 0x60
	s_addc_u32 s9, s5, 0
	s_getpc_b64 s[4:5]
	s_add_u32 s4, s4, __FUNCTION__._ZL9mul_mat_fIfLi32ELi3ELi1ELb1EEvPKT_PKfPKiPfiiiiiiiiiiiiiiii@rel32@lo+4
	s_addc_u32 s5, s5, __FUNCTION__._ZL9mul_mat_fIfLi32ELi3ELi1ELb1EEvPKT_PKfPKiPfiiiiiiiiiiiiiiii@rel32@hi+12
	s_getpc_b64 s[6:7]
	s_add_u32 s6, s6, _ZL14no_device_codePKciS0_iS0_@rel32@lo+4
	s_addc_u32 s7, s7, _ZL14no_device_codePKciS0_iS0_@rel32@hi+12
	v_mov_b32_e32 v0, 0x124
	v_mov_b32_e32 v1, s4
	;; [unrolled: 1-line block ×3, first 2 shown]
	s_mov_b32 s32, 0
	s_swappc_b64 s[30:31], s[6:7]
	.section	.rodata,"a",@progbits
	.p2align	6, 0x0
	.amdhsa_kernel _ZL9mul_mat_fI15__hip_bfloat162Li64ELi3ELi3ELb1EEvPKT_PKfPKiPfiiiiiiiiiiiiiiii
		.amdhsa_group_segment_fixed_size 0
		.amdhsa_private_segment_fixed_size 16
		.amdhsa_kernarg_size 352
		.amdhsa_user_sgpr_count 6
		.amdhsa_user_sgpr_private_segment_buffer 1
		.amdhsa_user_sgpr_dispatch_ptr 0
		.amdhsa_user_sgpr_queue_ptr 0
		.amdhsa_user_sgpr_kernarg_segment_ptr 1
		.amdhsa_user_sgpr_dispatch_id 0
		.amdhsa_user_sgpr_flat_scratch_init 0
		.amdhsa_user_sgpr_private_segment_size 0
		.amdhsa_uses_dynamic_stack 0
		.amdhsa_system_sgpr_private_segment_wavefront_offset 1
		.amdhsa_system_sgpr_workgroup_id_x 1
		.amdhsa_system_sgpr_workgroup_id_y 0
		.amdhsa_system_sgpr_workgroup_id_z 0
		.amdhsa_system_sgpr_workgroup_info 0
		.amdhsa_system_vgpr_workitem_id 0
		.amdhsa_next_free_vgpr 38
		.amdhsa_next_free_sgpr 34
		.amdhsa_reserve_vcc 1
		.amdhsa_reserve_flat_scratch 0
		.amdhsa_float_round_mode_32 0
		.amdhsa_float_round_mode_16_64 0
		.amdhsa_float_denorm_mode_32 3
		.amdhsa_float_denorm_mode_16_64 3
		.amdhsa_dx10_clamp 1
		.amdhsa_ieee_mode 1
		.amdhsa_fp16_overflow 0
		.amdhsa_exception_fp_ieee_invalid_op 0
		.amdhsa_exception_fp_denorm_src 0
		.amdhsa_exception_fp_ieee_div_zero 0
		.amdhsa_exception_fp_ieee_overflow 0
		.amdhsa_exception_fp_ieee_underflow 0
		.amdhsa_exception_fp_ieee_inexact 0
		.amdhsa_exception_int_div_zero 0
	.end_amdhsa_kernel
	.section	.text._ZL9mul_mat_fI15__hip_bfloat162Li64ELi3ELi3ELb1EEvPKT_PKfPKiPfiiiiiiiiiiiiiiii,"axG",@progbits,_ZL9mul_mat_fI15__hip_bfloat162Li64ELi3ELi3ELb1EEvPKT_PKfPKiPfiiiiiiiiiiiiiiii,comdat
.Lfunc_end130:
	.size	_ZL9mul_mat_fI15__hip_bfloat162Li64ELi3ELi3ELb1EEvPKT_PKfPKiPfiiiiiiiiiiiiiiii, .Lfunc_end130-_ZL9mul_mat_fI15__hip_bfloat162Li64ELi3ELi3ELb1EEvPKT_PKfPKiPfiiiiiiiiiiiiiiii
                                        ; -- End function
	.set _ZL9mul_mat_fI15__hip_bfloat162Li64ELi3ELi3ELb1EEvPKT_PKfPKiPfiiiiiiiiiiiiiiii.num_vgpr, max(3, .L_ZL14no_device_codePKciS0_iS0_.num_vgpr)
	.set _ZL9mul_mat_fI15__hip_bfloat162Li64ELi3ELi3ELb1EEvPKT_PKfPKiPfiiiiiiiiiiiiiiii.num_agpr, max(0, .L_ZL14no_device_codePKciS0_iS0_.num_agpr)
	.set _ZL9mul_mat_fI15__hip_bfloat162Li64ELi3ELi3ELb1EEvPKT_PKfPKiPfiiiiiiiiiiiiiiii.numbered_sgpr, max(33, .L_ZL14no_device_codePKciS0_iS0_.numbered_sgpr)
	.set _ZL9mul_mat_fI15__hip_bfloat162Li64ELi3ELi3ELb1EEvPKT_PKfPKiPfiiiiiiiiiiiiiiii.num_named_barrier, max(0, .L_ZL14no_device_codePKciS0_iS0_.num_named_barrier)
	.set _ZL9mul_mat_fI15__hip_bfloat162Li64ELi3ELi3ELb1EEvPKT_PKfPKiPfiiiiiiiiiiiiiiii.private_seg_size, 0+max(.L_ZL14no_device_codePKciS0_iS0_.private_seg_size)
	.set _ZL9mul_mat_fI15__hip_bfloat162Li64ELi3ELi3ELb1EEvPKT_PKfPKiPfiiiiiiiiiiiiiiii.uses_vcc, or(1, .L_ZL14no_device_codePKciS0_iS0_.uses_vcc)
	.set _ZL9mul_mat_fI15__hip_bfloat162Li64ELi3ELi3ELb1EEvPKT_PKfPKiPfiiiiiiiiiiiiiiii.uses_flat_scratch, or(0, .L_ZL14no_device_codePKciS0_iS0_.uses_flat_scratch)
	.set _ZL9mul_mat_fI15__hip_bfloat162Li64ELi3ELi3ELb1EEvPKT_PKfPKiPfiiiiiiiiiiiiiiii.has_dyn_sized_stack, or(0, .L_ZL14no_device_codePKciS0_iS0_.has_dyn_sized_stack)
	.set _ZL9mul_mat_fI15__hip_bfloat162Li64ELi3ELi3ELb1EEvPKT_PKfPKiPfiiiiiiiiiiiiiiii.has_recursion, or(0, .L_ZL14no_device_codePKciS0_iS0_.has_recursion)
	.set _ZL9mul_mat_fI15__hip_bfloat162Li64ELi3ELi3ELb1EEvPKT_PKfPKiPfiiiiiiiiiiiiiiii.has_indirect_call, or(0, .L_ZL14no_device_codePKciS0_iS0_.has_indirect_call)
	.section	.AMDGPU.csdata,"",@progbits
; Kernel info:
; codeLenInByte = 84
; TotalNumSgprs: 38
; NumVgprs: 38
; ScratchSize: 16
; MemoryBound: 0
; FloatMode: 240
; IeeeMode: 1
; LDSByteSize: 0 bytes/workgroup (compile time only)
; SGPRBlocks: 4
; VGPRBlocks: 9
; NumSGPRsForWavesPerEU: 38
; NumVGPRsForWavesPerEU: 38
; Occupancy: 6
; WaveLimiterHint : 1
; COMPUTE_PGM_RSRC2:SCRATCH_EN: 1
; COMPUTE_PGM_RSRC2:USER_SGPR: 6
; COMPUTE_PGM_RSRC2:TRAP_HANDLER: 0
; COMPUTE_PGM_RSRC2:TGID_X_EN: 1
; COMPUTE_PGM_RSRC2:TGID_Y_EN: 0
; COMPUTE_PGM_RSRC2:TGID_Z_EN: 0
; COMPUTE_PGM_RSRC2:TIDIG_COMP_CNT: 0
	.section	.text._ZL9mul_mat_fI15__hip_bfloat162Li64ELi3ELi3ELb0EEvPKT_PKfPKiPfiiiiiiiiiiiiiiii,"axG",@progbits,_ZL9mul_mat_fI15__hip_bfloat162Li64ELi3ELi3ELb0EEvPKT_PKfPKiPfiiiiiiiiiiiiiiii,comdat
	.globl	_ZL9mul_mat_fI15__hip_bfloat162Li64ELi3ELi3ELb0EEvPKT_PKfPKiPfiiiiiiiiiiiiiiii ; -- Begin function _ZL9mul_mat_fI15__hip_bfloat162Li64ELi3ELi3ELb0EEvPKT_PKfPKiPfiiiiiiiiiiiiiiii
	.p2align	8
	.type	_ZL9mul_mat_fI15__hip_bfloat162Li64ELi3ELi3ELb0EEvPKT_PKfPKiPfiiiiiiiiiiiiiiii,@function
_ZL9mul_mat_fI15__hip_bfloat162Li64ELi3ELi3ELb0EEvPKT_PKfPKiPfiiiiiiiiiiiiiiii: ; @_ZL9mul_mat_fI15__hip_bfloat162Li64ELi3ELi3ELb0EEvPKT_PKfPKiPfiiiiiiiiiiiiiiii
; %bb.0:
	s_add_u32 s0, s0, s7
	s_addc_u32 s1, s1, 0
	s_add_u32 s8, s4, 0x60
	s_addc_u32 s9, s5, 0
	s_getpc_b64 s[4:5]
	s_add_u32 s4, s4, __FUNCTION__._ZL9mul_mat_fIfLi32ELi3ELi1ELb1EEvPKT_PKfPKiPfiiiiiiiiiiiiiiii@rel32@lo+4
	s_addc_u32 s5, s5, __FUNCTION__._ZL9mul_mat_fIfLi32ELi3ELi1ELb1EEvPKT_PKfPKiPfiiiiiiiiiiiiiiii@rel32@hi+12
	s_getpc_b64 s[6:7]
	s_add_u32 s6, s6, _ZL14no_device_codePKciS0_iS0_@rel32@lo+4
	s_addc_u32 s7, s7, _ZL14no_device_codePKciS0_iS0_@rel32@hi+12
	v_mov_b32_e32 v0, 0x124
	v_mov_b32_e32 v1, s4
	;; [unrolled: 1-line block ×3, first 2 shown]
	s_mov_b32 s32, 0
	s_swappc_b64 s[30:31], s[6:7]
	.section	.rodata,"a",@progbits
	.p2align	6, 0x0
	.amdhsa_kernel _ZL9mul_mat_fI15__hip_bfloat162Li64ELi3ELi3ELb0EEvPKT_PKfPKiPfiiiiiiiiiiiiiiii
		.amdhsa_group_segment_fixed_size 0
		.amdhsa_private_segment_fixed_size 16
		.amdhsa_kernarg_size 352
		.amdhsa_user_sgpr_count 6
		.amdhsa_user_sgpr_private_segment_buffer 1
		.amdhsa_user_sgpr_dispatch_ptr 0
		.amdhsa_user_sgpr_queue_ptr 0
		.amdhsa_user_sgpr_kernarg_segment_ptr 1
		.amdhsa_user_sgpr_dispatch_id 0
		.amdhsa_user_sgpr_flat_scratch_init 0
		.amdhsa_user_sgpr_private_segment_size 0
		.amdhsa_uses_dynamic_stack 0
		.amdhsa_system_sgpr_private_segment_wavefront_offset 1
		.amdhsa_system_sgpr_workgroup_id_x 1
		.amdhsa_system_sgpr_workgroup_id_y 0
		.amdhsa_system_sgpr_workgroup_id_z 0
		.amdhsa_system_sgpr_workgroup_info 0
		.amdhsa_system_vgpr_workitem_id 0
		.amdhsa_next_free_vgpr 38
		.amdhsa_next_free_sgpr 34
		.amdhsa_reserve_vcc 1
		.amdhsa_reserve_flat_scratch 0
		.amdhsa_float_round_mode_32 0
		.amdhsa_float_round_mode_16_64 0
		.amdhsa_float_denorm_mode_32 3
		.amdhsa_float_denorm_mode_16_64 3
		.amdhsa_dx10_clamp 1
		.amdhsa_ieee_mode 1
		.amdhsa_fp16_overflow 0
		.amdhsa_exception_fp_ieee_invalid_op 0
		.amdhsa_exception_fp_denorm_src 0
		.amdhsa_exception_fp_ieee_div_zero 0
		.amdhsa_exception_fp_ieee_overflow 0
		.amdhsa_exception_fp_ieee_underflow 0
		.amdhsa_exception_fp_ieee_inexact 0
		.amdhsa_exception_int_div_zero 0
	.end_amdhsa_kernel
	.section	.text._ZL9mul_mat_fI15__hip_bfloat162Li64ELi3ELi3ELb0EEvPKT_PKfPKiPfiiiiiiiiiiiiiiii,"axG",@progbits,_ZL9mul_mat_fI15__hip_bfloat162Li64ELi3ELi3ELb0EEvPKT_PKfPKiPfiiiiiiiiiiiiiiii,comdat
.Lfunc_end131:
	.size	_ZL9mul_mat_fI15__hip_bfloat162Li64ELi3ELi3ELb0EEvPKT_PKfPKiPfiiiiiiiiiiiiiiii, .Lfunc_end131-_ZL9mul_mat_fI15__hip_bfloat162Li64ELi3ELi3ELb0EEvPKT_PKfPKiPfiiiiiiiiiiiiiiii
                                        ; -- End function
	.set _ZL9mul_mat_fI15__hip_bfloat162Li64ELi3ELi3ELb0EEvPKT_PKfPKiPfiiiiiiiiiiiiiiii.num_vgpr, max(3, .L_ZL14no_device_codePKciS0_iS0_.num_vgpr)
	.set _ZL9mul_mat_fI15__hip_bfloat162Li64ELi3ELi3ELb0EEvPKT_PKfPKiPfiiiiiiiiiiiiiiii.num_agpr, max(0, .L_ZL14no_device_codePKciS0_iS0_.num_agpr)
	.set _ZL9mul_mat_fI15__hip_bfloat162Li64ELi3ELi3ELb0EEvPKT_PKfPKiPfiiiiiiiiiiiiiiii.numbered_sgpr, max(33, .L_ZL14no_device_codePKciS0_iS0_.numbered_sgpr)
	.set _ZL9mul_mat_fI15__hip_bfloat162Li64ELi3ELi3ELb0EEvPKT_PKfPKiPfiiiiiiiiiiiiiiii.num_named_barrier, max(0, .L_ZL14no_device_codePKciS0_iS0_.num_named_barrier)
	.set _ZL9mul_mat_fI15__hip_bfloat162Li64ELi3ELi3ELb0EEvPKT_PKfPKiPfiiiiiiiiiiiiiiii.private_seg_size, 0+max(.L_ZL14no_device_codePKciS0_iS0_.private_seg_size)
	.set _ZL9mul_mat_fI15__hip_bfloat162Li64ELi3ELi3ELb0EEvPKT_PKfPKiPfiiiiiiiiiiiiiiii.uses_vcc, or(1, .L_ZL14no_device_codePKciS0_iS0_.uses_vcc)
	.set _ZL9mul_mat_fI15__hip_bfloat162Li64ELi3ELi3ELb0EEvPKT_PKfPKiPfiiiiiiiiiiiiiiii.uses_flat_scratch, or(0, .L_ZL14no_device_codePKciS0_iS0_.uses_flat_scratch)
	.set _ZL9mul_mat_fI15__hip_bfloat162Li64ELi3ELi3ELb0EEvPKT_PKfPKiPfiiiiiiiiiiiiiiii.has_dyn_sized_stack, or(0, .L_ZL14no_device_codePKciS0_iS0_.has_dyn_sized_stack)
	.set _ZL9mul_mat_fI15__hip_bfloat162Li64ELi3ELi3ELb0EEvPKT_PKfPKiPfiiiiiiiiiiiiiiii.has_recursion, or(0, .L_ZL14no_device_codePKciS0_iS0_.has_recursion)
	.set _ZL9mul_mat_fI15__hip_bfloat162Li64ELi3ELi3ELb0EEvPKT_PKfPKiPfiiiiiiiiiiiiiiii.has_indirect_call, or(0, .L_ZL14no_device_codePKciS0_iS0_.has_indirect_call)
	.section	.AMDGPU.csdata,"",@progbits
; Kernel info:
; codeLenInByte = 84
; TotalNumSgprs: 38
; NumVgprs: 38
; ScratchSize: 16
; MemoryBound: 0
; FloatMode: 240
; IeeeMode: 1
; LDSByteSize: 0 bytes/workgroup (compile time only)
; SGPRBlocks: 4
; VGPRBlocks: 9
; NumSGPRsForWavesPerEU: 38
; NumVGPRsForWavesPerEU: 38
; Occupancy: 6
; WaveLimiterHint : 1
; COMPUTE_PGM_RSRC2:SCRATCH_EN: 1
; COMPUTE_PGM_RSRC2:USER_SGPR: 6
; COMPUTE_PGM_RSRC2:TRAP_HANDLER: 0
; COMPUTE_PGM_RSRC2:TGID_X_EN: 1
; COMPUTE_PGM_RSRC2:TGID_Y_EN: 0
; COMPUTE_PGM_RSRC2:TGID_Z_EN: 0
; COMPUTE_PGM_RSRC2:TIDIG_COMP_CNT: 0
	.section	.text._ZL13mul_mat_f_idsI15__hip_bfloat162Li64ELi3ELi4EEvPKT_PKfPKiS7_S7_Pfiiiiiiiiiiiiii15HIP_vector_typeIjLj3EESA_,"axG",@progbits,_ZL13mul_mat_f_idsI15__hip_bfloat162Li64ELi3ELi4EEvPKT_PKfPKiS7_S7_Pfiiiiiiiiiiiiii15HIP_vector_typeIjLj3EESA_,comdat
	.globl	_ZL13mul_mat_f_idsI15__hip_bfloat162Li64ELi3ELi4EEvPKT_PKfPKiS7_S7_Pfiiiiiiiiiiiiii15HIP_vector_typeIjLj3EESA_ ; -- Begin function _ZL13mul_mat_f_idsI15__hip_bfloat162Li64ELi3ELi4EEvPKT_PKfPKiS7_S7_Pfiiiiiiiiiiiiii15HIP_vector_typeIjLj3EESA_
	.p2align	8
	.type	_ZL13mul_mat_f_idsI15__hip_bfloat162Li64ELi3ELi4EEvPKT_PKfPKiS7_S7_Pfiiiiiiiiiiiiii15HIP_vector_typeIjLj3EESA_,@function
_ZL13mul_mat_f_idsI15__hip_bfloat162Li64ELi3ELi4EEvPKT_PKfPKiS7_S7_Pfiiiiiiiiiiiiii15HIP_vector_typeIjLj3EESA_: ; @_ZL13mul_mat_f_idsI15__hip_bfloat162Li64ELi3ELi4EEvPKT_PKfPKiS7_S7_Pfiiiiiiiiiiiiii15HIP_vector_typeIjLj3EESA_
; %bb.0:
	s_add_u32 s0, s0, s7
	s_addc_u32 s1, s1, 0
	s_add_u32 s8, s4, 0x80
	s_addc_u32 s9, s5, 0
	s_getpc_b64 s[4:5]
	s_add_u32 s4, s4, __FUNCTION__._ZL13mul_mat_f_idsIfLi32ELi3ELi1EEvPKT_PKfPKiS6_S6_Pfiiiiiiiiiiiiii15HIP_vector_typeIjLj3EES9_@rel32@lo+4
	s_addc_u32 s5, s5, __FUNCTION__._ZL13mul_mat_f_idsIfLi32ELi3ELi1EEvPKT_PKfPKiS6_S6_Pfiiiiiiiiiiiiii15HIP_vector_typeIjLj3EES9_@rel32@hi+12
	s_getpc_b64 s[6:7]
	s_add_u32 s6, s6, _ZL14no_device_codePKciS0_iS0_@rel32@lo+4
	s_addc_u32 s7, s7, _ZL14no_device_codePKciS0_iS0_@rel32@hi+12
	v_mov_b32_e32 v0, 0x238
	v_mov_b32_e32 v1, s4
	;; [unrolled: 1-line block ×3, first 2 shown]
	s_mov_b32 s32, 0
	s_swappc_b64 s[30:31], s[6:7]
	.section	.rodata,"a",@progbits
	.p2align	6, 0x0
	.amdhsa_kernel _ZL13mul_mat_f_idsI15__hip_bfloat162Li64ELi3ELi4EEvPKT_PKfPKiS7_S7_Pfiiiiiiiiiiiiii15HIP_vector_typeIjLj3EESA_
		.amdhsa_group_segment_fixed_size 0
		.amdhsa_private_segment_fixed_size 16
		.amdhsa_kernarg_size 384
		.amdhsa_user_sgpr_count 6
		.amdhsa_user_sgpr_private_segment_buffer 1
		.amdhsa_user_sgpr_dispatch_ptr 0
		.amdhsa_user_sgpr_queue_ptr 0
		.amdhsa_user_sgpr_kernarg_segment_ptr 1
		.amdhsa_user_sgpr_dispatch_id 0
		.amdhsa_user_sgpr_flat_scratch_init 0
		.amdhsa_user_sgpr_private_segment_size 0
		.amdhsa_uses_dynamic_stack 0
		.amdhsa_system_sgpr_private_segment_wavefront_offset 1
		.amdhsa_system_sgpr_workgroup_id_x 1
		.amdhsa_system_sgpr_workgroup_id_y 0
		.amdhsa_system_sgpr_workgroup_id_z 0
		.amdhsa_system_sgpr_workgroup_info 0
		.amdhsa_system_vgpr_workitem_id 0
		.amdhsa_next_free_vgpr 38
		.amdhsa_next_free_sgpr 34
		.amdhsa_reserve_vcc 1
		.amdhsa_reserve_flat_scratch 0
		.amdhsa_float_round_mode_32 0
		.amdhsa_float_round_mode_16_64 0
		.amdhsa_float_denorm_mode_32 3
		.amdhsa_float_denorm_mode_16_64 3
		.amdhsa_dx10_clamp 1
		.amdhsa_ieee_mode 1
		.amdhsa_fp16_overflow 0
		.amdhsa_exception_fp_ieee_invalid_op 0
		.amdhsa_exception_fp_denorm_src 0
		.amdhsa_exception_fp_ieee_div_zero 0
		.amdhsa_exception_fp_ieee_overflow 0
		.amdhsa_exception_fp_ieee_underflow 0
		.amdhsa_exception_fp_ieee_inexact 0
		.amdhsa_exception_int_div_zero 0
	.end_amdhsa_kernel
	.section	.text._ZL13mul_mat_f_idsI15__hip_bfloat162Li64ELi3ELi4EEvPKT_PKfPKiS7_S7_Pfiiiiiiiiiiiiii15HIP_vector_typeIjLj3EESA_,"axG",@progbits,_ZL13mul_mat_f_idsI15__hip_bfloat162Li64ELi3ELi4EEvPKT_PKfPKiS7_S7_Pfiiiiiiiiiiiiii15HIP_vector_typeIjLj3EESA_,comdat
.Lfunc_end132:
	.size	_ZL13mul_mat_f_idsI15__hip_bfloat162Li64ELi3ELi4EEvPKT_PKfPKiS7_S7_Pfiiiiiiiiiiiiii15HIP_vector_typeIjLj3EESA_, .Lfunc_end132-_ZL13mul_mat_f_idsI15__hip_bfloat162Li64ELi3ELi4EEvPKT_PKfPKiS7_S7_Pfiiiiiiiiiiiiii15HIP_vector_typeIjLj3EESA_
                                        ; -- End function
	.set _ZL13mul_mat_f_idsI15__hip_bfloat162Li64ELi3ELi4EEvPKT_PKfPKiS7_S7_Pfiiiiiiiiiiiiii15HIP_vector_typeIjLj3EESA_.num_vgpr, max(3, .L_ZL14no_device_codePKciS0_iS0_.num_vgpr)
	.set _ZL13mul_mat_f_idsI15__hip_bfloat162Li64ELi3ELi4EEvPKT_PKfPKiS7_S7_Pfiiiiiiiiiiiiii15HIP_vector_typeIjLj3EESA_.num_agpr, max(0, .L_ZL14no_device_codePKciS0_iS0_.num_agpr)
	.set _ZL13mul_mat_f_idsI15__hip_bfloat162Li64ELi3ELi4EEvPKT_PKfPKiS7_S7_Pfiiiiiiiiiiiiii15HIP_vector_typeIjLj3EESA_.numbered_sgpr, max(33, .L_ZL14no_device_codePKciS0_iS0_.numbered_sgpr)
	.set _ZL13mul_mat_f_idsI15__hip_bfloat162Li64ELi3ELi4EEvPKT_PKfPKiS7_S7_Pfiiiiiiiiiiiiii15HIP_vector_typeIjLj3EESA_.num_named_barrier, max(0, .L_ZL14no_device_codePKciS0_iS0_.num_named_barrier)
	.set _ZL13mul_mat_f_idsI15__hip_bfloat162Li64ELi3ELi4EEvPKT_PKfPKiS7_S7_Pfiiiiiiiiiiiiii15HIP_vector_typeIjLj3EESA_.private_seg_size, 0+max(.L_ZL14no_device_codePKciS0_iS0_.private_seg_size)
	.set _ZL13mul_mat_f_idsI15__hip_bfloat162Li64ELi3ELi4EEvPKT_PKfPKiS7_S7_Pfiiiiiiiiiiiiii15HIP_vector_typeIjLj3EESA_.uses_vcc, or(1, .L_ZL14no_device_codePKciS0_iS0_.uses_vcc)
	.set _ZL13mul_mat_f_idsI15__hip_bfloat162Li64ELi3ELi4EEvPKT_PKfPKiS7_S7_Pfiiiiiiiiiiiiii15HIP_vector_typeIjLj3EESA_.uses_flat_scratch, or(0, .L_ZL14no_device_codePKciS0_iS0_.uses_flat_scratch)
	.set _ZL13mul_mat_f_idsI15__hip_bfloat162Li64ELi3ELi4EEvPKT_PKfPKiS7_S7_Pfiiiiiiiiiiiiii15HIP_vector_typeIjLj3EESA_.has_dyn_sized_stack, or(0, .L_ZL14no_device_codePKciS0_iS0_.has_dyn_sized_stack)
	.set _ZL13mul_mat_f_idsI15__hip_bfloat162Li64ELi3ELi4EEvPKT_PKfPKiS7_S7_Pfiiiiiiiiiiiiii15HIP_vector_typeIjLj3EESA_.has_recursion, or(0, .L_ZL14no_device_codePKciS0_iS0_.has_recursion)
	.set _ZL13mul_mat_f_idsI15__hip_bfloat162Li64ELi3ELi4EEvPKT_PKfPKiS7_S7_Pfiiiiiiiiiiiiii15HIP_vector_typeIjLj3EESA_.has_indirect_call, or(0, .L_ZL14no_device_codePKciS0_iS0_.has_indirect_call)
	.section	.AMDGPU.csdata,"",@progbits
; Kernel info:
; codeLenInByte = 84
; TotalNumSgprs: 38
; NumVgprs: 38
; ScratchSize: 16
; MemoryBound: 0
; FloatMode: 240
; IeeeMode: 1
; LDSByteSize: 0 bytes/workgroup (compile time only)
; SGPRBlocks: 4
; VGPRBlocks: 9
; NumSGPRsForWavesPerEU: 38
; NumVGPRsForWavesPerEU: 38
; Occupancy: 6
; WaveLimiterHint : 1
; COMPUTE_PGM_RSRC2:SCRATCH_EN: 1
; COMPUTE_PGM_RSRC2:USER_SGPR: 6
; COMPUTE_PGM_RSRC2:TRAP_HANDLER: 0
; COMPUTE_PGM_RSRC2:TGID_X_EN: 1
; COMPUTE_PGM_RSRC2:TGID_Y_EN: 0
; COMPUTE_PGM_RSRC2:TGID_Z_EN: 0
; COMPUTE_PGM_RSRC2:TIDIG_COMP_CNT: 0
	.section	.text._ZL9mul_mat_fI15__hip_bfloat162Li64ELi3ELi4ELb1EEvPKT_PKfPKiPfiiiiiiiiiiiiiiii,"axG",@progbits,_ZL9mul_mat_fI15__hip_bfloat162Li64ELi3ELi4ELb1EEvPKT_PKfPKiPfiiiiiiiiiiiiiiii,comdat
	.globl	_ZL9mul_mat_fI15__hip_bfloat162Li64ELi3ELi4ELb1EEvPKT_PKfPKiPfiiiiiiiiiiiiiiii ; -- Begin function _ZL9mul_mat_fI15__hip_bfloat162Li64ELi3ELi4ELb1EEvPKT_PKfPKiPfiiiiiiiiiiiiiiii
	.p2align	8
	.type	_ZL9mul_mat_fI15__hip_bfloat162Li64ELi3ELi4ELb1EEvPKT_PKfPKiPfiiiiiiiiiiiiiiii,@function
_ZL9mul_mat_fI15__hip_bfloat162Li64ELi3ELi4ELb1EEvPKT_PKfPKiPfiiiiiiiiiiiiiiii: ; @_ZL9mul_mat_fI15__hip_bfloat162Li64ELi3ELi4ELb1EEvPKT_PKfPKiPfiiiiiiiiiiiiiiii
; %bb.0:
	s_add_u32 s0, s0, s7
	s_addc_u32 s1, s1, 0
	s_add_u32 s8, s4, 0x60
	s_addc_u32 s9, s5, 0
	s_getpc_b64 s[4:5]
	s_add_u32 s4, s4, __FUNCTION__._ZL9mul_mat_fIfLi32ELi3ELi1ELb1EEvPKT_PKfPKiPfiiiiiiiiiiiiiiii@rel32@lo+4
	s_addc_u32 s5, s5, __FUNCTION__._ZL9mul_mat_fIfLi32ELi3ELi1ELb1EEvPKT_PKfPKiPfiiiiiiiiiiiiiiii@rel32@hi+12
	s_getpc_b64 s[6:7]
	s_add_u32 s6, s6, _ZL14no_device_codePKciS0_iS0_@rel32@lo+4
	s_addc_u32 s7, s7, _ZL14no_device_codePKciS0_iS0_@rel32@hi+12
	v_mov_b32_e32 v0, 0x124
	v_mov_b32_e32 v1, s4
	v_mov_b32_e32 v2, s5
	s_mov_b32 s32, 0
	s_swappc_b64 s[30:31], s[6:7]
	.section	.rodata,"a",@progbits
	.p2align	6, 0x0
	.amdhsa_kernel _ZL9mul_mat_fI15__hip_bfloat162Li64ELi3ELi4ELb1EEvPKT_PKfPKiPfiiiiiiiiiiiiiiii
		.amdhsa_group_segment_fixed_size 0
		.amdhsa_private_segment_fixed_size 16
		.amdhsa_kernarg_size 352
		.amdhsa_user_sgpr_count 6
		.amdhsa_user_sgpr_private_segment_buffer 1
		.amdhsa_user_sgpr_dispatch_ptr 0
		.amdhsa_user_sgpr_queue_ptr 0
		.amdhsa_user_sgpr_kernarg_segment_ptr 1
		.amdhsa_user_sgpr_dispatch_id 0
		.amdhsa_user_sgpr_flat_scratch_init 0
		.amdhsa_user_sgpr_private_segment_size 0
		.amdhsa_uses_dynamic_stack 0
		.amdhsa_system_sgpr_private_segment_wavefront_offset 1
		.amdhsa_system_sgpr_workgroup_id_x 1
		.amdhsa_system_sgpr_workgroup_id_y 0
		.amdhsa_system_sgpr_workgroup_id_z 0
		.amdhsa_system_sgpr_workgroup_info 0
		.amdhsa_system_vgpr_workitem_id 0
		.amdhsa_next_free_vgpr 38
		.amdhsa_next_free_sgpr 34
		.amdhsa_reserve_vcc 1
		.amdhsa_reserve_flat_scratch 0
		.amdhsa_float_round_mode_32 0
		.amdhsa_float_round_mode_16_64 0
		.amdhsa_float_denorm_mode_32 3
		.amdhsa_float_denorm_mode_16_64 3
		.amdhsa_dx10_clamp 1
		.amdhsa_ieee_mode 1
		.amdhsa_fp16_overflow 0
		.amdhsa_exception_fp_ieee_invalid_op 0
		.amdhsa_exception_fp_denorm_src 0
		.amdhsa_exception_fp_ieee_div_zero 0
		.amdhsa_exception_fp_ieee_overflow 0
		.amdhsa_exception_fp_ieee_underflow 0
		.amdhsa_exception_fp_ieee_inexact 0
		.amdhsa_exception_int_div_zero 0
	.end_amdhsa_kernel
	.section	.text._ZL9mul_mat_fI15__hip_bfloat162Li64ELi3ELi4ELb1EEvPKT_PKfPKiPfiiiiiiiiiiiiiiii,"axG",@progbits,_ZL9mul_mat_fI15__hip_bfloat162Li64ELi3ELi4ELb1EEvPKT_PKfPKiPfiiiiiiiiiiiiiiii,comdat
.Lfunc_end133:
	.size	_ZL9mul_mat_fI15__hip_bfloat162Li64ELi3ELi4ELb1EEvPKT_PKfPKiPfiiiiiiiiiiiiiiii, .Lfunc_end133-_ZL9mul_mat_fI15__hip_bfloat162Li64ELi3ELi4ELb1EEvPKT_PKfPKiPfiiiiiiiiiiiiiiii
                                        ; -- End function
	.set _ZL9mul_mat_fI15__hip_bfloat162Li64ELi3ELi4ELb1EEvPKT_PKfPKiPfiiiiiiiiiiiiiiii.num_vgpr, max(3, .L_ZL14no_device_codePKciS0_iS0_.num_vgpr)
	.set _ZL9mul_mat_fI15__hip_bfloat162Li64ELi3ELi4ELb1EEvPKT_PKfPKiPfiiiiiiiiiiiiiiii.num_agpr, max(0, .L_ZL14no_device_codePKciS0_iS0_.num_agpr)
	.set _ZL9mul_mat_fI15__hip_bfloat162Li64ELi3ELi4ELb1EEvPKT_PKfPKiPfiiiiiiiiiiiiiiii.numbered_sgpr, max(33, .L_ZL14no_device_codePKciS0_iS0_.numbered_sgpr)
	.set _ZL9mul_mat_fI15__hip_bfloat162Li64ELi3ELi4ELb1EEvPKT_PKfPKiPfiiiiiiiiiiiiiiii.num_named_barrier, max(0, .L_ZL14no_device_codePKciS0_iS0_.num_named_barrier)
	.set _ZL9mul_mat_fI15__hip_bfloat162Li64ELi3ELi4ELb1EEvPKT_PKfPKiPfiiiiiiiiiiiiiiii.private_seg_size, 0+max(.L_ZL14no_device_codePKciS0_iS0_.private_seg_size)
	.set _ZL9mul_mat_fI15__hip_bfloat162Li64ELi3ELi4ELb1EEvPKT_PKfPKiPfiiiiiiiiiiiiiiii.uses_vcc, or(1, .L_ZL14no_device_codePKciS0_iS0_.uses_vcc)
	.set _ZL9mul_mat_fI15__hip_bfloat162Li64ELi3ELi4ELb1EEvPKT_PKfPKiPfiiiiiiiiiiiiiiii.uses_flat_scratch, or(0, .L_ZL14no_device_codePKciS0_iS0_.uses_flat_scratch)
	.set _ZL9mul_mat_fI15__hip_bfloat162Li64ELi3ELi4ELb1EEvPKT_PKfPKiPfiiiiiiiiiiiiiiii.has_dyn_sized_stack, or(0, .L_ZL14no_device_codePKciS0_iS0_.has_dyn_sized_stack)
	.set _ZL9mul_mat_fI15__hip_bfloat162Li64ELi3ELi4ELb1EEvPKT_PKfPKiPfiiiiiiiiiiiiiiii.has_recursion, or(0, .L_ZL14no_device_codePKciS0_iS0_.has_recursion)
	.set _ZL9mul_mat_fI15__hip_bfloat162Li64ELi3ELi4ELb1EEvPKT_PKfPKiPfiiiiiiiiiiiiiiii.has_indirect_call, or(0, .L_ZL14no_device_codePKciS0_iS0_.has_indirect_call)
	.section	.AMDGPU.csdata,"",@progbits
; Kernel info:
; codeLenInByte = 84
; TotalNumSgprs: 38
; NumVgprs: 38
; ScratchSize: 16
; MemoryBound: 0
; FloatMode: 240
; IeeeMode: 1
; LDSByteSize: 0 bytes/workgroup (compile time only)
; SGPRBlocks: 4
; VGPRBlocks: 9
; NumSGPRsForWavesPerEU: 38
; NumVGPRsForWavesPerEU: 38
; Occupancy: 6
; WaveLimiterHint : 1
; COMPUTE_PGM_RSRC2:SCRATCH_EN: 1
; COMPUTE_PGM_RSRC2:USER_SGPR: 6
; COMPUTE_PGM_RSRC2:TRAP_HANDLER: 0
; COMPUTE_PGM_RSRC2:TGID_X_EN: 1
; COMPUTE_PGM_RSRC2:TGID_Y_EN: 0
; COMPUTE_PGM_RSRC2:TGID_Z_EN: 0
; COMPUTE_PGM_RSRC2:TIDIG_COMP_CNT: 0
	.section	.text._ZL9mul_mat_fI15__hip_bfloat162Li64ELi3ELi4ELb0EEvPKT_PKfPKiPfiiiiiiiiiiiiiiii,"axG",@progbits,_ZL9mul_mat_fI15__hip_bfloat162Li64ELi3ELi4ELb0EEvPKT_PKfPKiPfiiiiiiiiiiiiiiii,comdat
	.globl	_ZL9mul_mat_fI15__hip_bfloat162Li64ELi3ELi4ELb0EEvPKT_PKfPKiPfiiiiiiiiiiiiiiii ; -- Begin function _ZL9mul_mat_fI15__hip_bfloat162Li64ELi3ELi4ELb0EEvPKT_PKfPKiPfiiiiiiiiiiiiiiii
	.p2align	8
	.type	_ZL9mul_mat_fI15__hip_bfloat162Li64ELi3ELi4ELb0EEvPKT_PKfPKiPfiiiiiiiiiiiiiiii,@function
_ZL9mul_mat_fI15__hip_bfloat162Li64ELi3ELi4ELb0EEvPKT_PKfPKiPfiiiiiiiiiiiiiiii: ; @_ZL9mul_mat_fI15__hip_bfloat162Li64ELi3ELi4ELb0EEvPKT_PKfPKiPfiiiiiiiiiiiiiiii
; %bb.0:
	s_add_u32 s0, s0, s7
	s_addc_u32 s1, s1, 0
	s_add_u32 s8, s4, 0x60
	s_addc_u32 s9, s5, 0
	s_getpc_b64 s[4:5]
	s_add_u32 s4, s4, __FUNCTION__._ZL9mul_mat_fIfLi32ELi3ELi1ELb1EEvPKT_PKfPKiPfiiiiiiiiiiiiiiii@rel32@lo+4
	s_addc_u32 s5, s5, __FUNCTION__._ZL9mul_mat_fIfLi32ELi3ELi1ELb1EEvPKT_PKfPKiPfiiiiiiiiiiiiiiii@rel32@hi+12
	s_getpc_b64 s[6:7]
	s_add_u32 s6, s6, _ZL14no_device_codePKciS0_iS0_@rel32@lo+4
	s_addc_u32 s7, s7, _ZL14no_device_codePKciS0_iS0_@rel32@hi+12
	v_mov_b32_e32 v0, 0x124
	v_mov_b32_e32 v1, s4
	;; [unrolled: 1-line block ×3, first 2 shown]
	s_mov_b32 s32, 0
	s_swappc_b64 s[30:31], s[6:7]
	.section	.rodata,"a",@progbits
	.p2align	6, 0x0
	.amdhsa_kernel _ZL9mul_mat_fI15__hip_bfloat162Li64ELi3ELi4ELb0EEvPKT_PKfPKiPfiiiiiiiiiiiiiiii
		.amdhsa_group_segment_fixed_size 0
		.amdhsa_private_segment_fixed_size 16
		.amdhsa_kernarg_size 352
		.amdhsa_user_sgpr_count 6
		.amdhsa_user_sgpr_private_segment_buffer 1
		.amdhsa_user_sgpr_dispatch_ptr 0
		.amdhsa_user_sgpr_queue_ptr 0
		.amdhsa_user_sgpr_kernarg_segment_ptr 1
		.amdhsa_user_sgpr_dispatch_id 0
		.amdhsa_user_sgpr_flat_scratch_init 0
		.amdhsa_user_sgpr_private_segment_size 0
		.amdhsa_uses_dynamic_stack 0
		.amdhsa_system_sgpr_private_segment_wavefront_offset 1
		.amdhsa_system_sgpr_workgroup_id_x 1
		.amdhsa_system_sgpr_workgroup_id_y 0
		.amdhsa_system_sgpr_workgroup_id_z 0
		.amdhsa_system_sgpr_workgroup_info 0
		.amdhsa_system_vgpr_workitem_id 0
		.amdhsa_next_free_vgpr 38
		.amdhsa_next_free_sgpr 34
		.amdhsa_reserve_vcc 1
		.amdhsa_reserve_flat_scratch 0
		.amdhsa_float_round_mode_32 0
		.amdhsa_float_round_mode_16_64 0
		.amdhsa_float_denorm_mode_32 3
		.amdhsa_float_denorm_mode_16_64 3
		.amdhsa_dx10_clamp 1
		.amdhsa_ieee_mode 1
		.amdhsa_fp16_overflow 0
		.amdhsa_exception_fp_ieee_invalid_op 0
		.amdhsa_exception_fp_denorm_src 0
		.amdhsa_exception_fp_ieee_div_zero 0
		.amdhsa_exception_fp_ieee_overflow 0
		.amdhsa_exception_fp_ieee_underflow 0
		.amdhsa_exception_fp_ieee_inexact 0
		.amdhsa_exception_int_div_zero 0
	.end_amdhsa_kernel
	.section	.text._ZL9mul_mat_fI15__hip_bfloat162Li64ELi3ELi4ELb0EEvPKT_PKfPKiPfiiiiiiiiiiiiiiii,"axG",@progbits,_ZL9mul_mat_fI15__hip_bfloat162Li64ELi3ELi4ELb0EEvPKT_PKfPKiPfiiiiiiiiiiiiiiii,comdat
.Lfunc_end134:
	.size	_ZL9mul_mat_fI15__hip_bfloat162Li64ELi3ELi4ELb0EEvPKT_PKfPKiPfiiiiiiiiiiiiiiii, .Lfunc_end134-_ZL9mul_mat_fI15__hip_bfloat162Li64ELi3ELi4ELb0EEvPKT_PKfPKiPfiiiiiiiiiiiiiiii
                                        ; -- End function
	.set _ZL9mul_mat_fI15__hip_bfloat162Li64ELi3ELi4ELb0EEvPKT_PKfPKiPfiiiiiiiiiiiiiiii.num_vgpr, max(3, .L_ZL14no_device_codePKciS0_iS0_.num_vgpr)
	.set _ZL9mul_mat_fI15__hip_bfloat162Li64ELi3ELi4ELb0EEvPKT_PKfPKiPfiiiiiiiiiiiiiiii.num_agpr, max(0, .L_ZL14no_device_codePKciS0_iS0_.num_agpr)
	.set _ZL9mul_mat_fI15__hip_bfloat162Li64ELi3ELi4ELb0EEvPKT_PKfPKiPfiiiiiiiiiiiiiiii.numbered_sgpr, max(33, .L_ZL14no_device_codePKciS0_iS0_.numbered_sgpr)
	.set _ZL9mul_mat_fI15__hip_bfloat162Li64ELi3ELi4ELb0EEvPKT_PKfPKiPfiiiiiiiiiiiiiiii.num_named_barrier, max(0, .L_ZL14no_device_codePKciS0_iS0_.num_named_barrier)
	.set _ZL9mul_mat_fI15__hip_bfloat162Li64ELi3ELi4ELb0EEvPKT_PKfPKiPfiiiiiiiiiiiiiiii.private_seg_size, 0+max(.L_ZL14no_device_codePKciS0_iS0_.private_seg_size)
	.set _ZL9mul_mat_fI15__hip_bfloat162Li64ELi3ELi4ELb0EEvPKT_PKfPKiPfiiiiiiiiiiiiiiii.uses_vcc, or(1, .L_ZL14no_device_codePKciS0_iS0_.uses_vcc)
	.set _ZL9mul_mat_fI15__hip_bfloat162Li64ELi3ELi4ELb0EEvPKT_PKfPKiPfiiiiiiiiiiiiiiii.uses_flat_scratch, or(0, .L_ZL14no_device_codePKciS0_iS0_.uses_flat_scratch)
	.set _ZL9mul_mat_fI15__hip_bfloat162Li64ELi3ELi4ELb0EEvPKT_PKfPKiPfiiiiiiiiiiiiiiii.has_dyn_sized_stack, or(0, .L_ZL14no_device_codePKciS0_iS0_.has_dyn_sized_stack)
	.set _ZL9mul_mat_fI15__hip_bfloat162Li64ELi3ELi4ELb0EEvPKT_PKfPKiPfiiiiiiiiiiiiiiii.has_recursion, or(0, .L_ZL14no_device_codePKciS0_iS0_.has_recursion)
	.set _ZL9mul_mat_fI15__hip_bfloat162Li64ELi3ELi4ELb0EEvPKT_PKfPKiPfiiiiiiiiiiiiiiii.has_indirect_call, or(0, .L_ZL14no_device_codePKciS0_iS0_.has_indirect_call)
	.section	.AMDGPU.csdata,"",@progbits
; Kernel info:
; codeLenInByte = 84
; TotalNumSgprs: 38
; NumVgprs: 38
; ScratchSize: 16
; MemoryBound: 0
; FloatMode: 240
; IeeeMode: 1
; LDSByteSize: 0 bytes/workgroup (compile time only)
; SGPRBlocks: 4
; VGPRBlocks: 9
; NumSGPRsForWavesPerEU: 38
; NumVGPRsForWavesPerEU: 38
; Occupancy: 6
; WaveLimiterHint : 1
; COMPUTE_PGM_RSRC2:SCRATCH_EN: 1
; COMPUTE_PGM_RSRC2:USER_SGPR: 6
; COMPUTE_PGM_RSRC2:TRAP_HANDLER: 0
; COMPUTE_PGM_RSRC2:TGID_X_EN: 1
; COMPUTE_PGM_RSRC2:TGID_Y_EN: 0
; COMPUTE_PGM_RSRC2:TGID_Z_EN: 0
; COMPUTE_PGM_RSRC2:TIDIG_COMP_CNT: 0
	.section	.text._ZL13mul_mat_f_idsI15__hip_bfloat162Li64ELi3ELi5EEvPKT_PKfPKiS7_S7_Pfiiiiiiiiiiiiii15HIP_vector_typeIjLj3EESA_,"axG",@progbits,_ZL13mul_mat_f_idsI15__hip_bfloat162Li64ELi3ELi5EEvPKT_PKfPKiS7_S7_Pfiiiiiiiiiiiiii15HIP_vector_typeIjLj3EESA_,comdat
	.globl	_ZL13mul_mat_f_idsI15__hip_bfloat162Li64ELi3ELi5EEvPKT_PKfPKiS7_S7_Pfiiiiiiiiiiiiii15HIP_vector_typeIjLj3EESA_ ; -- Begin function _ZL13mul_mat_f_idsI15__hip_bfloat162Li64ELi3ELi5EEvPKT_PKfPKiS7_S7_Pfiiiiiiiiiiiiii15HIP_vector_typeIjLj3EESA_
	.p2align	8
	.type	_ZL13mul_mat_f_idsI15__hip_bfloat162Li64ELi3ELi5EEvPKT_PKfPKiS7_S7_Pfiiiiiiiiiiiiii15HIP_vector_typeIjLj3EESA_,@function
_ZL13mul_mat_f_idsI15__hip_bfloat162Li64ELi3ELi5EEvPKT_PKfPKiS7_S7_Pfiiiiiiiiiiiiii15HIP_vector_typeIjLj3EESA_: ; @_ZL13mul_mat_f_idsI15__hip_bfloat162Li64ELi3ELi5EEvPKT_PKfPKiS7_S7_Pfiiiiiiiiiiiiii15HIP_vector_typeIjLj3EESA_
; %bb.0:
	s_add_u32 s0, s0, s7
	s_addc_u32 s1, s1, 0
	s_add_u32 s8, s4, 0x80
	s_addc_u32 s9, s5, 0
	s_getpc_b64 s[4:5]
	s_add_u32 s4, s4, __FUNCTION__._ZL13mul_mat_f_idsIfLi32ELi3ELi1EEvPKT_PKfPKiS6_S6_Pfiiiiiiiiiiiiii15HIP_vector_typeIjLj3EES9_@rel32@lo+4
	s_addc_u32 s5, s5, __FUNCTION__._ZL13mul_mat_f_idsIfLi32ELi3ELi1EEvPKT_PKfPKiS6_S6_Pfiiiiiiiiiiiiii15HIP_vector_typeIjLj3EES9_@rel32@hi+12
	s_getpc_b64 s[6:7]
	s_add_u32 s6, s6, _ZL14no_device_codePKciS0_iS0_@rel32@lo+4
	s_addc_u32 s7, s7, _ZL14no_device_codePKciS0_iS0_@rel32@hi+12
	v_mov_b32_e32 v0, 0x238
	v_mov_b32_e32 v1, s4
	;; [unrolled: 1-line block ×3, first 2 shown]
	s_mov_b32 s32, 0
	s_swappc_b64 s[30:31], s[6:7]
	.section	.rodata,"a",@progbits
	.p2align	6, 0x0
	.amdhsa_kernel _ZL13mul_mat_f_idsI15__hip_bfloat162Li64ELi3ELi5EEvPKT_PKfPKiS7_S7_Pfiiiiiiiiiiiiii15HIP_vector_typeIjLj3EESA_
		.amdhsa_group_segment_fixed_size 0
		.amdhsa_private_segment_fixed_size 16
		.amdhsa_kernarg_size 384
		.amdhsa_user_sgpr_count 6
		.amdhsa_user_sgpr_private_segment_buffer 1
		.amdhsa_user_sgpr_dispatch_ptr 0
		.amdhsa_user_sgpr_queue_ptr 0
		.amdhsa_user_sgpr_kernarg_segment_ptr 1
		.amdhsa_user_sgpr_dispatch_id 0
		.amdhsa_user_sgpr_flat_scratch_init 0
		.amdhsa_user_sgpr_private_segment_size 0
		.amdhsa_uses_dynamic_stack 0
		.amdhsa_system_sgpr_private_segment_wavefront_offset 1
		.amdhsa_system_sgpr_workgroup_id_x 1
		.amdhsa_system_sgpr_workgroup_id_y 0
		.amdhsa_system_sgpr_workgroup_id_z 0
		.amdhsa_system_sgpr_workgroup_info 0
		.amdhsa_system_vgpr_workitem_id 0
		.amdhsa_next_free_vgpr 38
		.amdhsa_next_free_sgpr 34
		.amdhsa_reserve_vcc 1
		.amdhsa_reserve_flat_scratch 0
		.amdhsa_float_round_mode_32 0
		.amdhsa_float_round_mode_16_64 0
		.amdhsa_float_denorm_mode_32 3
		.amdhsa_float_denorm_mode_16_64 3
		.amdhsa_dx10_clamp 1
		.amdhsa_ieee_mode 1
		.amdhsa_fp16_overflow 0
		.amdhsa_exception_fp_ieee_invalid_op 0
		.amdhsa_exception_fp_denorm_src 0
		.amdhsa_exception_fp_ieee_div_zero 0
		.amdhsa_exception_fp_ieee_overflow 0
		.amdhsa_exception_fp_ieee_underflow 0
		.amdhsa_exception_fp_ieee_inexact 0
		.amdhsa_exception_int_div_zero 0
	.end_amdhsa_kernel
	.section	.text._ZL13mul_mat_f_idsI15__hip_bfloat162Li64ELi3ELi5EEvPKT_PKfPKiS7_S7_Pfiiiiiiiiiiiiii15HIP_vector_typeIjLj3EESA_,"axG",@progbits,_ZL13mul_mat_f_idsI15__hip_bfloat162Li64ELi3ELi5EEvPKT_PKfPKiS7_S7_Pfiiiiiiiiiiiiii15HIP_vector_typeIjLj3EESA_,comdat
.Lfunc_end135:
	.size	_ZL13mul_mat_f_idsI15__hip_bfloat162Li64ELi3ELi5EEvPKT_PKfPKiS7_S7_Pfiiiiiiiiiiiiii15HIP_vector_typeIjLj3EESA_, .Lfunc_end135-_ZL13mul_mat_f_idsI15__hip_bfloat162Li64ELi3ELi5EEvPKT_PKfPKiS7_S7_Pfiiiiiiiiiiiiii15HIP_vector_typeIjLj3EESA_
                                        ; -- End function
	.set _ZL13mul_mat_f_idsI15__hip_bfloat162Li64ELi3ELi5EEvPKT_PKfPKiS7_S7_Pfiiiiiiiiiiiiii15HIP_vector_typeIjLj3EESA_.num_vgpr, max(3, .L_ZL14no_device_codePKciS0_iS0_.num_vgpr)
	.set _ZL13mul_mat_f_idsI15__hip_bfloat162Li64ELi3ELi5EEvPKT_PKfPKiS7_S7_Pfiiiiiiiiiiiiii15HIP_vector_typeIjLj3EESA_.num_agpr, max(0, .L_ZL14no_device_codePKciS0_iS0_.num_agpr)
	.set _ZL13mul_mat_f_idsI15__hip_bfloat162Li64ELi3ELi5EEvPKT_PKfPKiS7_S7_Pfiiiiiiiiiiiiii15HIP_vector_typeIjLj3EESA_.numbered_sgpr, max(33, .L_ZL14no_device_codePKciS0_iS0_.numbered_sgpr)
	.set _ZL13mul_mat_f_idsI15__hip_bfloat162Li64ELi3ELi5EEvPKT_PKfPKiS7_S7_Pfiiiiiiiiiiiiii15HIP_vector_typeIjLj3EESA_.num_named_barrier, max(0, .L_ZL14no_device_codePKciS0_iS0_.num_named_barrier)
	.set _ZL13mul_mat_f_idsI15__hip_bfloat162Li64ELi3ELi5EEvPKT_PKfPKiS7_S7_Pfiiiiiiiiiiiiii15HIP_vector_typeIjLj3EESA_.private_seg_size, 0+max(.L_ZL14no_device_codePKciS0_iS0_.private_seg_size)
	.set _ZL13mul_mat_f_idsI15__hip_bfloat162Li64ELi3ELi5EEvPKT_PKfPKiS7_S7_Pfiiiiiiiiiiiiii15HIP_vector_typeIjLj3EESA_.uses_vcc, or(1, .L_ZL14no_device_codePKciS0_iS0_.uses_vcc)
	.set _ZL13mul_mat_f_idsI15__hip_bfloat162Li64ELi3ELi5EEvPKT_PKfPKiS7_S7_Pfiiiiiiiiiiiiii15HIP_vector_typeIjLj3EESA_.uses_flat_scratch, or(0, .L_ZL14no_device_codePKciS0_iS0_.uses_flat_scratch)
	.set _ZL13mul_mat_f_idsI15__hip_bfloat162Li64ELi3ELi5EEvPKT_PKfPKiS7_S7_Pfiiiiiiiiiiiiii15HIP_vector_typeIjLj3EESA_.has_dyn_sized_stack, or(0, .L_ZL14no_device_codePKciS0_iS0_.has_dyn_sized_stack)
	.set _ZL13mul_mat_f_idsI15__hip_bfloat162Li64ELi3ELi5EEvPKT_PKfPKiS7_S7_Pfiiiiiiiiiiiiii15HIP_vector_typeIjLj3EESA_.has_recursion, or(0, .L_ZL14no_device_codePKciS0_iS0_.has_recursion)
	.set _ZL13mul_mat_f_idsI15__hip_bfloat162Li64ELi3ELi5EEvPKT_PKfPKiS7_S7_Pfiiiiiiiiiiiiii15HIP_vector_typeIjLj3EESA_.has_indirect_call, or(0, .L_ZL14no_device_codePKciS0_iS0_.has_indirect_call)
	.section	.AMDGPU.csdata,"",@progbits
; Kernel info:
; codeLenInByte = 84
; TotalNumSgprs: 38
; NumVgprs: 38
; ScratchSize: 16
; MemoryBound: 0
; FloatMode: 240
; IeeeMode: 1
; LDSByteSize: 0 bytes/workgroup (compile time only)
; SGPRBlocks: 4
; VGPRBlocks: 9
; NumSGPRsForWavesPerEU: 38
; NumVGPRsForWavesPerEU: 38
; Occupancy: 6
; WaveLimiterHint : 1
; COMPUTE_PGM_RSRC2:SCRATCH_EN: 1
; COMPUTE_PGM_RSRC2:USER_SGPR: 6
; COMPUTE_PGM_RSRC2:TRAP_HANDLER: 0
; COMPUTE_PGM_RSRC2:TGID_X_EN: 1
; COMPUTE_PGM_RSRC2:TGID_Y_EN: 0
; COMPUTE_PGM_RSRC2:TGID_Z_EN: 0
; COMPUTE_PGM_RSRC2:TIDIG_COMP_CNT: 0
	.section	.text._ZL9mul_mat_fI15__hip_bfloat162Li64ELi3ELi5ELb1EEvPKT_PKfPKiPfiiiiiiiiiiiiiiii,"axG",@progbits,_ZL9mul_mat_fI15__hip_bfloat162Li64ELi3ELi5ELb1EEvPKT_PKfPKiPfiiiiiiiiiiiiiiii,comdat
	.globl	_ZL9mul_mat_fI15__hip_bfloat162Li64ELi3ELi5ELb1EEvPKT_PKfPKiPfiiiiiiiiiiiiiiii ; -- Begin function _ZL9mul_mat_fI15__hip_bfloat162Li64ELi3ELi5ELb1EEvPKT_PKfPKiPfiiiiiiiiiiiiiiii
	.p2align	8
	.type	_ZL9mul_mat_fI15__hip_bfloat162Li64ELi3ELi5ELb1EEvPKT_PKfPKiPfiiiiiiiiiiiiiiii,@function
_ZL9mul_mat_fI15__hip_bfloat162Li64ELi3ELi5ELb1EEvPKT_PKfPKiPfiiiiiiiiiiiiiiii: ; @_ZL9mul_mat_fI15__hip_bfloat162Li64ELi3ELi5ELb1EEvPKT_PKfPKiPfiiiiiiiiiiiiiiii
; %bb.0:
	s_add_u32 s0, s0, s7
	s_addc_u32 s1, s1, 0
	s_add_u32 s8, s4, 0x60
	s_addc_u32 s9, s5, 0
	s_getpc_b64 s[4:5]
	s_add_u32 s4, s4, __FUNCTION__._ZL9mul_mat_fIfLi32ELi3ELi1ELb1EEvPKT_PKfPKiPfiiiiiiiiiiiiiiii@rel32@lo+4
	s_addc_u32 s5, s5, __FUNCTION__._ZL9mul_mat_fIfLi32ELi3ELi1ELb1EEvPKT_PKfPKiPfiiiiiiiiiiiiiiii@rel32@hi+12
	s_getpc_b64 s[6:7]
	s_add_u32 s6, s6, _ZL14no_device_codePKciS0_iS0_@rel32@lo+4
	s_addc_u32 s7, s7, _ZL14no_device_codePKciS0_iS0_@rel32@hi+12
	v_mov_b32_e32 v0, 0x124
	v_mov_b32_e32 v1, s4
	;; [unrolled: 1-line block ×3, first 2 shown]
	s_mov_b32 s32, 0
	s_swappc_b64 s[30:31], s[6:7]
	.section	.rodata,"a",@progbits
	.p2align	6, 0x0
	.amdhsa_kernel _ZL9mul_mat_fI15__hip_bfloat162Li64ELi3ELi5ELb1EEvPKT_PKfPKiPfiiiiiiiiiiiiiiii
		.amdhsa_group_segment_fixed_size 0
		.amdhsa_private_segment_fixed_size 16
		.amdhsa_kernarg_size 352
		.amdhsa_user_sgpr_count 6
		.amdhsa_user_sgpr_private_segment_buffer 1
		.amdhsa_user_sgpr_dispatch_ptr 0
		.amdhsa_user_sgpr_queue_ptr 0
		.amdhsa_user_sgpr_kernarg_segment_ptr 1
		.amdhsa_user_sgpr_dispatch_id 0
		.amdhsa_user_sgpr_flat_scratch_init 0
		.amdhsa_user_sgpr_private_segment_size 0
		.amdhsa_uses_dynamic_stack 0
		.amdhsa_system_sgpr_private_segment_wavefront_offset 1
		.amdhsa_system_sgpr_workgroup_id_x 1
		.amdhsa_system_sgpr_workgroup_id_y 0
		.amdhsa_system_sgpr_workgroup_id_z 0
		.amdhsa_system_sgpr_workgroup_info 0
		.amdhsa_system_vgpr_workitem_id 0
		.amdhsa_next_free_vgpr 38
		.amdhsa_next_free_sgpr 34
		.amdhsa_reserve_vcc 1
		.amdhsa_reserve_flat_scratch 0
		.amdhsa_float_round_mode_32 0
		.amdhsa_float_round_mode_16_64 0
		.amdhsa_float_denorm_mode_32 3
		.amdhsa_float_denorm_mode_16_64 3
		.amdhsa_dx10_clamp 1
		.amdhsa_ieee_mode 1
		.amdhsa_fp16_overflow 0
		.amdhsa_exception_fp_ieee_invalid_op 0
		.amdhsa_exception_fp_denorm_src 0
		.amdhsa_exception_fp_ieee_div_zero 0
		.amdhsa_exception_fp_ieee_overflow 0
		.amdhsa_exception_fp_ieee_underflow 0
		.amdhsa_exception_fp_ieee_inexact 0
		.amdhsa_exception_int_div_zero 0
	.end_amdhsa_kernel
	.section	.text._ZL9mul_mat_fI15__hip_bfloat162Li64ELi3ELi5ELb1EEvPKT_PKfPKiPfiiiiiiiiiiiiiiii,"axG",@progbits,_ZL9mul_mat_fI15__hip_bfloat162Li64ELi3ELi5ELb1EEvPKT_PKfPKiPfiiiiiiiiiiiiiiii,comdat
.Lfunc_end136:
	.size	_ZL9mul_mat_fI15__hip_bfloat162Li64ELi3ELi5ELb1EEvPKT_PKfPKiPfiiiiiiiiiiiiiiii, .Lfunc_end136-_ZL9mul_mat_fI15__hip_bfloat162Li64ELi3ELi5ELb1EEvPKT_PKfPKiPfiiiiiiiiiiiiiiii
                                        ; -- End function
	.set _ZL9mul_mat_fI15__hip_bfloat162Li64ELi3ELi5ELb1EEvPKT_PKfPKiPfiiiiiiiiiiiiiiii.num_vgpr, max(3, .L_ZL14no_device_codePKciS0_iS0_.num_vgpr)
	.set _ZL9mul_mat_fI15__hip_bfloat162Li64ELi3ELi5ELb1EEvPKT_PKfPKiPfiiiiiiiiiiiiiiii.num_agpr, max(0, .L_ZL14no_device_codePKciS0_iS0_.num_agpr)
	.set _ZL9mul_mat_fI15__hip_bfloat162Li64ELi3ELi5ELb1EEvPKT_PKfPKiPfiiiiiiiiiiiiiiii.numbered_sgpr, max(33, .L_ZL14no_device_codePKciS0_iS0_.numbered_sgpr)
	.set _ZL9mul_mat_fI15__hip_bfloat162Li64ELi3ELi5ELb1EEvPKT_PKfPKiPfiiiiiiiiiiiiiiii.num_named_barrier, max(0, .L_ZL14no_device_codePKciS0_iS0_.num_named_barrier)
	.set _ZL9mul_mat_fI15__hip_bfloat162Li64ELi3ELi5ELb1EEvPKT_PKfPKiPfiiiiiiiiiiiiiiii.private_seg_size, 0+max(.L_ZL14no_device_codePKciS0_iS0_.private_seg_size)
	.set _ZL9mul_mat_fI15__hip_bfloat162Li64ELi3ELi5ELb1EEvPKT_PKfPKiPfiiiiiiiiiiiiiiii.uses_vcc, or(1, .L_ZL14no_device_codePKciS0_iS0_.uses_vcc)
	.set _ZL9mul_mat_fI15__hip_bfloat162Li64ELi3ELi5ELb1EEvPKT_PKfPKiPfiiiiiiiiiiiiiiii.uses_flat_scratch, or(0, .L_ZL14no_device_codePKciS0_iS0_.uses_flat_scratch)
	.set _ZL9mul_mat_fI15__hip_bfloat162Li64ELi3ELi5ELb1EEvPKT_PKfPKiPfiiiiiiiiiiiiiiii.has_dyn_sized_stack, or(0, .L_ZL14no_device_codePKciS0_iS0_.has_dyn_sized_stack)
	.set _ZL9mul_mat_fI15__hip_bfloat162Li64ELi3ELi5ELb1EEvPKT_PKfPKiPfiiiiiiiiiiiiiiii.has_recursion, or(0, .L_ZL14no_device_codePKciS0_iS0_.has_recursion)
	.set _ZL9mul_mat_fI15__hip_bfloat162Li64ELi3ELi5ELb1EEvPKT_PKfPKiPfiiiiiiiiiiiiiiii.has_indirect_call, or(0, .L_ZL14no_device_codePKciS0_iS0_.has_indirect_call)
	.section	.AMDGPU.csdata,"",@progbits
; Kernel info:
; codeLenInByte = 84
; TotalNumSgprs: 38
; NumVgprs: 38
; ScratchSize: 16
; MemoryBound: 0
; FloatMode: 240
; IeeeMode: 1
; LDSByteSize: 0 bytes/workgroup (compile time only)
; SGPRBlocks: 4
; VGPRBlocks: 9
; NumSGPRsForWavesPerEU: 38
; NumVGPRsForWavesPerEU: 38
; Occupancy: 6
; WaveLimiterHint : 1
; COMPUTE_PGM_RSRC2:SCRATCH_EN: 1
; COMPUTE_PGM_RSRC2:USER_SGPR: 6
; COMPUTE_PGM_RSRC2:TRAP_HANDLER: 0
; COMPUTE_PGM_RSRC2:TGID_X_EN: 1
; COMPUTE_PGM_RSRC2:TGID_Y_EN: 0
; COMPUTE_PGM_RSRC2:TGID_Z_EN: 0
; COMPUTE_PGM_RSRC2:TIDIG_COMP_CNT: 0
	.section	.text._ZL9mul_mat_fI15__hip_bfloat162Li64ELi3ELi5ELb0EEvPKT_PKfPKiPfiiiiiiiiiiiiiiii,"axG",@progbits,_ZL9mul_mat_fI15__hip_bfloat162Li64ELi3ELi5ELb0EEvPKT_PKfPKiPfiiiiiiiiiiiiiiii,comdat
	.globl	_ZL9mul_mat_fI15__hip_bfloat162Li64ELi3ELi5ELb0EEvPKT_PKfPKiPfiiiiiiiiiiiiiiii ; -- Begin function _ZL9mul_mat_fI15__hip_bfloat162Li64ELi3ELi5ELb0EEvPKT_PKfPKiPfiiiiiiiiiiiiiiii
	.p2align	8
	.type	_ZL9mul_mat_fI15__hip_bfloat162Li64ELi3ELi5ELb0EEvPKT_PKfPKiPfiiiiiiiiiiiiiiii,@function
_ZL9mul_mat_fI15__hip_bfloat162Li64ELi3ELi5ELb0EEvPKT_PKfPKiPfiiiiiiiiiiiiiiii: ; @_ZL9mul_mat_fI15__hip_bfloat162Li64ELi3ELi5ELb0EEvPKT_PKfPKiPfiiiiiiiiiiiiiiii
; %bb.0:
	s_add_u32 s0, s0, s7
	s_addc_u32 s1, s1, 0
	s_add_u32 s8, s4, 0x60
	s_addc_u32 s9, s5, 0
	s_getpc_b64 s[4:5]
	s_add_u32 s4, s4, __FUNCTION__._ZL9mul_mat_fIfLi32ELi3ELi1ELb1EEvPKT_PKfPKiPfiiiiiiiiiiiiiiii@rel32@lo+4
	s_addc_u32 s5, s5, __FUNCTION__._ZL9mul_mat_fIfLi32ELi3ELi1ELb1EEvPKT_PKfPKiPfiiiiiiiiiiiiiiii@rel32@hi+12
	s_getpc_b64 s[6:7]
	s_add_u32 s6, s6, _ZL14no_device_codePKciS0_iS0_@rel32@lo+4
	s_addc_u32 s7, s7, _ZL14no_device_codePKciS0_iS0_@rel32@hi+12
	v_mov_b32_e32 v0, 0x124
	v_mov_b32_e32 v1, s4
	;; [unrolled: 1-line block ×3, first 2 shown]
	s_mov_b32 s32, 0
	s_swappc_b64 s[30:31], s[6:7]
	.section	.rodata,"a",@progbits
	.p2align	6, 0x0
	.amdhsa_kernel _ZL9mul_mat_fI15__hip_bfloat162Li64ELi3ELi5ELb0EEvPKT_PKfPKiPfiiiiiiiiiiiiiiii
		.amdhsa_group_segment_fixed_size 0
		.amdhsa_private_segment_fixed_size 16
		.amdhsa_kernarg_size 352
		.amdhsa_user_sgpr_count 6
		.amdhsa_user_sgpr_private_segment_buffer 1
		.amdhsa_user_sgpr_dispatch_ptr 0
		.amdhsa_user_sgpr_queue_ptr 0
		.amdhsa_user_sgpr_kernarg_segment_ptr 1
		.amdhsa_user_sgpr_dispatch_id 0
		.amdhsa_user_sgpr_flat_scratch_init 0
		.amdhsa_user_sgpr_private_segment_size 0
		.amdhsa_uses_dynamic_stack 0
		.amdhsa_system_sgpr_private_segment_wavefront_offset 1
		.amdhsa_system_sgpr_workgroup_id_x 1
		.amdhsa_system_sgpr_workgroup_id_y 0
		.amdhsa_system_sgpr_workgroup_id_z 0
		.amdhsa_system_sgpr_workgroup_info 0
		.amdhsa_system_vgpr_workitem_id 0
		.amdhsa_next_free_vgpr 38
		.amdhsa_next_free_sgpr 34
		.amdhsa_reserve_vcc 1
		.amdhsa_reserve_flat_scratch 0
		.amdhsa_float_round_mode_32 0
		.amdhsa_float_round_mode_16_64 0
		.amdhsa_float_denorm_mode_32 3
		.amdhsa_float_denorm_mode_16_64 3
		.amdhsa_dx10_clamp 1
		.amdhsa_ieee_mode 1
		.amdhsa_fp16_overflow 0
		.amdhsa_exception_fp_ieee_invalid_op 0
		.amdhsa_exception_fp_denorm_src 0
		.amdhsa_exception_fp_ieee_div_zero 0
		.amdhsa_exception_fp_ieee_overflow 0
		.amdhsa_exception_fp_ieee_underflow 0
		.amdhsa_exception_fp_ieee_inexact 0
		.amdhsa_exception_int_div_zero 0
	.end_amdhsa_kernel
	.section	.text._ZL9mul_mat_fI15__hip_bfloat162Li64ELi3ELi5ELb0EEvPKT_PKfPKiPfiiiiiiiiiiiiiiii,"axG",@progbits,_ZL9mul_mat_fI15__hip_bfloat162Li64ELi3ELi5ELb0EEvPKT_PKfPKiPfiiiiiiiiiiiiiiii,comdat
.Lfunc_end137:
	.size	_ZL9mul_mat_fI15__hip_bfloat162Li64ELi3ELi5ELb0EEvPKT_PKfPKiPfiiiiiiiiiiiiiiii, .Lfunc_end137-_ZL9mul_mat_fI15__hip_bfloat162Li64ELi3ELi5ELb0EEvPKT_PKfPKiPfiiiiiiiiiiiiiiii
                                        ; -- End function
	.set _ZL9mul_mat_fI15__hip_bfloat162Li64ELi3ELi5ELb0EEvPKT_PKfPKiPfiiiiiiiiiiiiiiii.num_vgpr, max(3, .L_ZL14no_device_codePKciS0_iS0_.num_vgpr)
	.set _ZL9mul_mat_fI15__hip_bfloat162Li64ELi3ELi5ELb0EEvPKT_PKfPKiPfiiiiiiiiiiiiiiii.num_agpr, max(0, .L_ZL14no_device_codePKciS0_iS0_.num_agpr)
	.set _ZL9mul_mat_fI15__hip_bfloat162Li64ELi3ELi5ELb0EEvPKT_PKfPKiPfiiiiiiiiiiiiiiii.numbered_sgpr, max(33, .L_ZL14no_device_codePKciS0_iS0_.numbered_sgpr)
	.set _ZL9mul_mat_fI15__hip_bfloat162Li64ELi3ELi5ELb0EEvPKT_PKfPKiPfiiiiiiiiiiiiiiii.num_named_barrier, max(0, .L_ZL14no_device_codePKciS0_iS0_.num_named_barrier)
	.set _ZL9mul_mat_fI15__hip_bfloat162Li64ELi3ELi5ELb0EEvPKT_PKfPKiPfiiiiiiiiiiiiiiii.private_seg_size, 0+max(.L_ZL14no_device_codePKciS0_iS0_.private_seg_size)
	.set _ZL9mul_mat_fI15__hip_bfloat162Li64ELi3ELi5ELb0EEvPKT_PKfPKiPfiiiiiiiiiiiiiiii.uses_vcc, or(1, .L_ZL14no_device_codePKciS0_iS0_.uses_vcc)
	.set _ZL9mul_mat_fI15__hip_bfloat162Li64ELi3ELi5ELb0EEvPKT_PKfPKiPfiiiiiiiiiiiiiiii.uses_flat_scratch, or(0, .L_ZL14no_device_codePKciS0_iS0_.uses_flat_scratch)
	.set _ZL9mul_mat_fI15__hip_bfloat162Li64ELi3ELi5ELb0EEvPKT_PKfPKiPfiiiiiiiiiiiiiiii.has_dyn_sized_stack, or(0, .L_ZL14no_device_codePKciS0_iS0_.has_dyn_sized_stack)
	.set _ZL9mul_mat_fI15__hip_bfloat162Li64ELi3ELi5ELb0EEvPKT_PKfPKiPfiiiiiiiiiiiiiiii.has_recursion, or(0, .L_ZL14no_device_codePKciS0_iS0_.has_recursion)
	.set _ZL9mul_mat_fI15__hip_bfloat162Li64ELi3ELi5ELb0EEvPKT_PKfPKiPfiiiiiiiiiiiiiiii.has_indirect_call, or(0, .L_ZL14no_device_codePKciS0_iS0_.has_indirect_call)
	.section	.AMDGPU.csdata,"",@progbits
; Kernel info:
; codeLenInByte = 84
; TotalNumSgprs: 38
; NumVgprs: 38
; ScratchSize: 16
; MemoryBound: 0
; FloatMode: 240
; IeeeMode: 1
; LDSByteSize: 0 bytes/workgroup (compile time only)
; SGPRBlocks: 4
; VGPRBlocks: 9
; NumSGPRsForWavesPerEU: 38
; NumVGPRsForWavesPerEU: 38
; Occupancy: 6
; WaveLimiterHint : 1
; COMPUTE_PGM_RSRC2:SCRATCH_EN: 1
; COMPUTE_PGM_RSRC2:USER_SGPR: 6
; COMPUTE_PGM_RSRC2:TRAP_HANDLER: 0
; COMPUTE_PGM_RSRC2:TGID_X_EN: 1
; COMPUTE_PGM_RSRC2:TGID_Y_EN: 0
; COMPUTE_PGM_RSRC2:TGID_Z_EN: 0
; COMPUTE_PGM_RSRC2:TIDIG_COMP_CNT: 0
	.section	.text._ZL13mul_mat_f_idsI15__hip_bfloat162Li64ELi3ELi6EEvPKT_PKfPKiS7_S7_Pfiiiiiiiiiiiiii15HIP_vector_typeIjLj3EESA_,"axG",@progbits,_ZL13mul_mat_f_idsI15__hip_bfloat162Li64ELi3ELi6EEvPKT_PKfPKiS7_S7_Pfiiiiiiiiiiiiii15HIP_vector_typeIjLj3EESA_,comdat
	.globl	_ZL13mul_mat_f_idsI15__hip_bfloat162Li64ELi3ELi6EEvPKT_PKfPKiS7_S7_Pfiiiiiiiiiiiiii15HIP_vector_typeIjLj3EESA_ ; -- Begin function _ZL13mul_mat_f_idsI15__hip_bfloat162Li64ELi3ELi6EEvPKT_PKfPKiS7_S7_Pfiiiiiiiiiiiiii15HIP_vector_typeIjLj3EESA_
	.p2align	8
	.type	_ZL13mul_mat_f_idsI15__hip_bfloat162Li64ELi3ELi6EEvPKT_PKfPKiS7_S7_Pfiiiiiiiiiiiiii15HIP_vector_typeIjLj3EESA_,@function
_ZL13mul_mat_f_idsI15__hip_bfloat162Li64ELi3ELi6EEvPKT_PKfPKiS7_S7_Pfiiiiiiiiiiiiii15HIP_vector_typeIjLj3EESA_: ; @_ZL13mul_mat_f_idsI15__hip_bfloat162Li64ELi3ELi6EEvPKT_PKfPKiS7_S7_Pfiiiiiiiiiiiiii15HIP_vector_typeIjLj3EESA_
; %bb.0:
	s_add_u32 s0, s0, s7
	s_addc_u32 s1, s1, 0
	s_add_u32 s8, s4, 0x80
	s_addc_u32 s9, s5, 0
	s_getpc_b64 s[4:5]
	s_add_u32 s4, s4, __FUNCTION__._ZL13mul_mat_f_idsIfLi32ELi3ELi1EEvPKT_PKfPKiS6_S6_Pfiiiiiiiiiiiiii15HIP_vector_typeIjLj3EES9_@rel32@lo+4
	s_addc_u32 s5, s5, __FUNCTION__._ZL13mul_mat_f_idsIfLi32ELi3ELi1EEvPKT_PKfPKiS6_S6_Pfiiiiiiiiiiiiii15HIP_vector_typeIjLj3EES9_@rel32@hi+12
	s_getpc_b64 s[6:7]
	s_add_u32 s6, s6, _ZL14no_device_codePKciS0_iS0_@rel32@lo+4
	s_addc_u32 s7, s7, _ZL14no_device_codePKciS0_iS0_@rel32@hi+12
	v_mov_b32_e32 v0, 0x238
	v_mov_b32_e32 v1, s4
	;; [unrolled: 1-line block ×3, first 2 shown]
	s_mov_b32 s32, 0
	s_swappc_b64 s[30:31], s[6:7]
	.section	.rodata,"a",@progbits
	.p2align	6, 0x0
	.amdhsa_kernel _ZL13mul_mat_f_idsI15__hip_bfloat162Li64ELi3ELi6EEvPKT_PKfPKiS7_S7_Pfiiiiiiiiiiiiii15HIP_vector_typeIjLj3EESA_
		.amdhsa_group_segment_fixed_size 0
		.amdhsa_private_segment_fixed_size 16
		.amdhsa_kernarg_size 384
		.amdhsa_user_sgpr_count 6
		.amdhsa_user_sgpr_private_segment_buffer 1
		.amdhsa_user_sgpr_dispatch_ptr 0
		.amdhsa_user_sgpr_queue_ptr 0
		.amdhsa_user_sgpr_kernarg_segment_ptr 1
		.amdhsa_user_sgpr_dispatch_id 0
		.amdhsa_user_sgpr_flat_scratch_init 0
		.amdhsa_user_sgpr_private_segment_size 0
		.amdhsa_uses_dynamic_stack 0
		.amdhsa_system_sgpr_private_segment_wavefront_offset 1
		.amdhsa_system_sgpr_workgroup_id_x 1
		.amdhsa_system_sgpr_workgroup_id_y 0
		.amdhsa_system_sgpr_workgroup_id_z 0
		.amdhsa_system_sgpr_workgroup_info 0
		.amdhsa_system_vgpr_workitem_id 0
		.amdhsa_next_free_vgpr 38
		.amdhsa_next_free_sgpr 34
		.amdhsa_reserve_vcc 1
		.amdhsa_reserve_flat_scratch 0
		.amdhsa_float_round_mode_32 0
		.amdhsa_float_round_mode_16_64 0
		.amdhsa_float_denorm_mode_32 3
		.amdhsa_float_denorm_mode_16_64 3
		.amdhsa_dx10_clamp 1
		.amdhsa_ieee_mode 1
		.amdhsa_fp16_overflow 0
		.amdhsa_exception_fp_ieee_invalid_op 0
		.amdhsa_exception_fp_denorm_src 0
		.amdhsa_exception_fp_ieee_div_zero 0
		.amdhsa_exception_fp_ieee_overflow 0
		.amdhsa_exception_fp_ieee_underflow 0
		.amdhsa_exception_fp_ieee_inexact 0
		.amdhsa_exception_int_div_zero 0
	.end_amdhsa_kernel
	.section	.text._ZL13mul_mat_f_idsI15__hip_bfloat162Li64ELi3ELi6EEvPKT_PKfPKiS7_S7_Pfiiiiiiiiiiiiii15HIP_vector_typeIjLj3EESA_,"axG",@progbits,_ZL13mul_mat_f_idsI15__hip_bfloat162Li64ELi3ELi6EEvPKT_PKfPKiS7_S7_Pfiiiiiiiiiiiiii15HIP_vector_typeIjLj3EESA_,comdat
.Lfunc_end138:
	.size	_ZL13mul_mat_f_idsI15__hip_bfloat162Li64ELi3ELi6EEvPKT_PKfPKiS7_S7_Pfiiiiiiiiiiiiii15HIP_vector_typeIjLj3EESA_, .Lfunc_end138-_ZL13mul_mat_f_idsI15__hip_bfloat162Li64ELi3ELi6EEvPKT_PKfPKiS7_S7_Pfiiiiiiiiiiiiii15HIP_vector_typeIjLj3EESA_
                                        ; -- End function
	.set _ZL13mul_mat_f_idsI15__hip_bfloat162Li64ELi3ELi6EEvPKT_PKfPKiS7_S7_Pfiiiiiiiiiiiiii15HIP_vector_typeIjLj3EESA_.num_vgpr, max(3, .L_ZL14no_device_codePKciS0_iS0_.num_vgpr)
	.set _ZL13mul_mat_f_idsI15__hip_bfloat162Li64ELi3ELi6EEvPKT_PKfPKiS7_S7_Pfiiiiiiiiiiiiii15HIP_vector_typeIjLj3EESA_.num_agpr, max(0, .L_ZL14no_device_codePKciS0_iS0_.num_agpr)
	.set _ZL13mul_mat_f_idsI15__hip_bfloat162Li64ELi3ELi6EEvPKT_PKfPKiS7_S7_Pfiiiiiiiiiiiiii15HIP_vector_typeIjLj3EESA_.numbered_sgpr, max(33, .L_ZL14no_device_codePKciS0_iS0_.numbered_sgpr)
	.set _ZL13mul_mat_f_idsI15__hip_bfloat162Li64ELi3ELi6EEvPKT_PKfPKiS7_S7_Pfiiiiiiiiiiiiii15HIP_vector_typeIjLj3EESA_.num_named_barrier, max(0, .L_ZL14no_device_codePKciS0_iS0_.num_named_barrier)
	.set _ZL13mul_mat_f_idsI15__hip_bfloat162Li64ELi3ELi6EEvPKT_PKfPKiS7_S7_Pfiiiiiiiiiiiiii15HIP_vector_typeIjLj3EESA_.private_seg_size, 0+max(.L_ZL14no_device_codePKciS0_iS0_.private_seg_size)
	.set _ZL13mul_mat_f_idsI15__hip_bfloat162Li64ELi3ELi6EEvPKT_PKfPKiS7_S7_Pfiiiiiiiiiiiiii15HIP_vector_typeIjLj3EESA_.uses_vcc, or(1, .L_ZL14no_device_codePKciS0_iS0_.uses_vcc)
	.set _ZL13mul_mat_f_idsI15__hip_bfloat162Li64ELi3ELi6EEvPKT_PKfPKiS7_S7_Pfiiiiiiiiiiiiii15HIP_vector_typeIjLj3EESA_.uses_flat_scratch, or(0, .L_ZL14no_device_codePKciS0_iS0_.uses_flat_scratch)
	.set _ZL13mul_mat_f_idsI15__hip_bfloat162Li64ELi3ELi6EEvPKT_PKfPKiS7_S7_Pfiiiiiiiiiiiiii15HIP_vector_typeIjLj3EESA_.has_dyn_sized_stack, or(0, .L_ZL14no_device_codePKciS0_iS0_.has_dyn_sized_stack)
	.set _ZL13mul_mat_f_idsI15__hip_bfloat162Li64ELi3ELi6EEvPKT_PKfPKiS7_S7_Pfiiiiiiiiiiiiii15HIP_vector_typeIjLj3EESA_.has_recursion, or(0, .L_ZL14no_device_codePKciS0_iS0_.has_recursion)
	.set _ZL13mul_mat_f_idsI15__hip_bfloat162Li64ELi3ELi6EEvPKT_PKfPKiS7_S7_Pfiiiiiiiiiiiiii15HIP_vector_typeIjLj3EESA_.has_indirect_call, or(0, .L_ZL14no_device_codePKciS0_iS0_.has_indirect_call)
	.section	.AMDGPU.csdata,"",@progbits
; Kernel info:
; codeLenInByte = 84
; TotalNumSgprs: 38
; NumVgprs: 38
; ScratchSize: 16
; MemoryBound: 0
; FloatMode: 240
; IeeeMode: 1
; LDSByteSize: 0 bytes/workgroup (compile time only)
; SGPRBlocks: 4
; VGPRBlocks: 9
; NumSGPRsForWavesPerEU: 38
; NumVGPRsForWavesPerEU: 38
; Occupancy: 6
; WaveLimiterHint : 1
; COMPUTE_PGM_RSRC2:SCRATCH_EN: 1
; COMPUTE_PGM_RSRC2:USER_SGPR: 6
; COMPUTE_PGM_RSRC2:TRAP_HANDLER: 0
; COMPUTE_PGM_RSRC2:TGID_X_EN: 1
; COMPUTE_PGM_RSRC2:TGID_Y_EN: 0
; COMPUTE_PGM_RSRC2:TGID_Z_EN: 0
; COMPUTE_PGM_RSRC2:TIDIG_COMP_CNT: 0
	.section	.text._ZL9mul_mat_fI15__hip_bfloat162Li64ELi3ELi6ELb1EEvPKT_PKfPKiPfiiiiiiiiiiiiiiii,"axG",@progbits,_ZL9mul_mat_fI15__hip_bfloat162Li64ELi3ELi6ELb1EEvPKT_PKfPKiPfiiiiiiiiiiiiiiii,comdat
	.globl	_ZL9mul_mat_fI15__hip_bfloat162Li64ELi3ELi6ELb1EEvPKT_PKfPKiPfiiiiiiiiiiiiiiii ; -- Begin function _ZL9mul_mat_fI15__hip_bfloat162Li64ELi3ELi6ELb1EEvPKT_PKfPKiPfiiiiiiiiiiiiiiii
	.p2align	8
	.type	_ZL9mul_mat_fI15__hip_bfloat162Li64ELi3ELi6ELb1EEvPKT_PKfPKiPfiiiiiiiiiiiiiiii,@function
_ZL9mul_mat_fI15__hip_bfloat162Li64ELi3ELi6ELb1EEvPKT_PKfPKiPfiiiiiiiiiiiiiiii: ; @_ZL9mul_mat_fI15__hip_bfloat162Li64ELi3ELi6ELb1EEvPKT_PKfPKiPfiiiiiiiiiiiiiiii
; %bb.0:
	s_add_u32 s0, s0, s7
	s_addc_u32 s1, s1, 0
	s_add_u32 s8, s4, 0x60
	s_addc_u32 s9, s5, 0
	s_getpc_b64 s[4:5]
	s_add_u32 s4, s4, __FUNCTION__._ZL9mul_mat_fIfLi32ELi3ELi1ELb1EEvPKT_PKfPKiPfiiiiiiiiiiiiiiii@rel32@lo+4
	s_addc_u32 s5, s5, __FUNCTION__._ZL9mul_mat_fIfLi32ELi3ELi1ELb1EEvPKT_PKfPKiPfiiiiiiiiiiiiiiii@rel32@hi+12
	s_getpc_b64 s[6:7]
	s_add_u32 s6, s6, _ZL14no_device_codePKciS0_iS0_@rel32@lo+4
	s_addc_u32 s7, s7, _ZL14no_device_codePKciS0_iS0_@rel32@hi+12
	v_mov_b32_e32 v0, 0x124
	v_mov_b32_e32 v1, s4
	;; [unrolled: 1-line block ×3, first 2 shown]
	s_mov_b32 s32, 0
	s_swappc_b64 s[30:31], s[6:7]
	.section	.rodata,"a",@progbits
	.p2align	6, 0x0
	.amdhsa_kernel _ZL9mul_mat_fI15__hip_bfloat162Li64ELi3ELi6ELb1EEvPKT_PKfPKiPfiiiiiiiiiiiiiiii
		.amdhsa_group_segment_fixed_size 0
		.amdhsa_private_segment_fixed_size 16
		.amdhsa_kernarg_size 352
		.amdhsa_user_sgpr_count 6
		.amdhsa_user_sgpr_private_segment_buffer 1
		.amdhsa_user_sgpr_dispatch_ptr 0
		.amdhsa_user_sgpr_queue_ptr 0
		.amdhsa_user_sgpr_kernarg_segment_ptr 1
		.amdhsa_user_sgpr_dispatch_id 0
		.amdhsa_user_sgpr_flat_scratch_init 0
		.amdhsa_user_sgpr_private_segment_size 0
		.amdhsa_uses_dynamic_stack 0
		.amdhsa_system_sgpr_private_segment_wavefront_offset 1
		.amdhsa_system_sgpr_workgroup_id_x 1
		.amdhsa_system_sgpr_workgroup_id_y 0
		.amdhsa_system_sgpr_workgroup_id_z 0
		.amdhsa_system_sgpr_workgroup_info 0
		.amdhsa_system_vgpr_workitem_id 0
		.amdhsa_next_free_vgpr 38
		.amdhsa_next_free_sgpr 34
		.amdhsa_reserve_vcc 1
		.amdhsa_reserve_flat_scratch 0
		.amdhsa_float_round_mode_32 0
		.amdhsa_float_round_mode_16_64 0
		.amdhsa_float_denorm_mode_32 3
		.amdhsa_float_denorm_mode_16_64 3
		.amdhsa_dx10_clamp 1
		.amdhsa_ieee_mode 1
		.amdhsa_fp16_overflow 0
		.amdhsa_exception_fp_ieee_invalid_op 0
		.amdhsa_exception_fp_denorm_src 0
		.amdhsa_exception_fp_ieee_div_zero 0
		.amdhsa_exception_fp_ieee_overflow 0
		.amdhsa_exception_fp_ieee_underflow 0
		.amdhsa_exception_fp_ieee_inexact 0
		.amdhsa_exception_int_div_zero 0
	.end_amdhsa_kernel
	.section	.text._ZL9mul_mat_fI15__hip_bfloat162Li64ELi3ELi6ELb1EEvPKT_PKfPKiPfiiiiiiiiiiiiiiii,"axG",@progbits,_ZL9mul_mat_fI15__hip_bfloat162Li64ELi3ELi6ELb1EEvPKT_PKfPKiPfiiiiiiiiiiiiiiii,comdat
.Lfunc_end139:
	.size	_ZL9mul_mat_fI15__hip_bfloat162Li64ELi3ELi6ELb1EEvPKT_PKfPKiPfiiiiiiiiiiiiiiii, .Lfunc_end139-_ZL9mul_mat_fI15__hip_bfloat162Li64ELi3ELi6ELb1EEvPKT_PKfPKiPfiiiiiiiiiiiiiiii
                                        ; -- End function
	.set _ZL9mul_mat_fI15__hip_bfloat162Li64ELi3ELi6ELb1EEvPKT_PKfPKiPfiiiiiiiiiiiiiiii.num_vgpr, max(3, .L_ZL14no_device_codePKciS0_iS0_.num_vgpr)
	.set _ZL9mul_mat_fI15__hip_bfloat162Li64ELi3ELi6ELb1EEvPKT_PKfPKiPfiiiiiiiiiiiiiiii.num_agpr, max(0, .L_ZL14no_device_codePKciS0_iS0_.num_agpr)
	.set _ZL9mul_mat_fI15__hip_bfloat162Li64ELi3ELi6ELb1EEvPKT_PKfPKiPfiiiiiiiiiiiiiiii.numbered_sgpr, max(33, .L_ZL14no_device_codePKciS0_iS0_.numbered_sgpr)
	.set _ZL9mul_mat_fI15__hip_bfloat162Li64ELi3ELi6ELb1EEvPKT_PKfPKiPfiiiiiiiiiiiiiiii.num_named_barrier, max(0, .L_ZL14no_device_codePKciS0_iS0_.num_named_barrier)
	.set _ZL9mul_mat_fI15__hip_bfloat162Li64ELi3ELi6ELb1EEvPKT_PKfPKiPfiiiiiiiiiiiiiiii.private_seg_size, 0+max(.L_ZL14no_device_codePKciS0_iS0_.private_seg_size)
	.set _ZL9mul_mat_fI15__hip_bfloat162Li64ELi3ELi6ELb1EEvPKT_PKfPKiPfiiiiiiiiiiiiiiii.uses_vcc, or(1, .L_ZL14no_device_codePKciS0_iS0_.uses_vcc)
	.set _ZL9mul_mat_fI15__hip_bfloat162Li64ELi3ELi6ELb1EEvPKT_PKfPKiPfiiiiiiiiiiiiiiii.uses_flat_scratch, or(0, .L_ZL14no_device_codePKciS0_iS0_.uses_flat_scratch)
	.set _ZL9mul_mat_fI15__hip_bfloat162Li64ELi3ELi6ELb1EEvPKT_PKfPKiPfiiiiiiiiiiiiiiii.has_dyn_sized_stack, or(0, .L_ZL14no_device_codePKciS0_iS0_.has_dyn_sized_stack)
	.set _ZL9mul_mat_fI15__hip_bfloat162Li64ELi3ELi6ELb1EEvPKT_PKfPKiPfiiiiiiiiiiiiiiii.has_recursion, or(0, .L_ZL14no_device_codePKciS0_iS0_.has_recursion)
	.set _ZL9mul_mat_fI15__hip_bfloat162Li64ELi3ELi6ELb1EEvPKT_PKfPKiPfiiiiiiiiiiiiiiii.has_indirect_call, or(0, .L_ZL14no_device_codePKciS0_iS0_.has_indirect_call)
	.section	.AMDGPU.csdata,"",@progbits
; Kernel info:
; codeLenInByte = 84
; TotalNumSgprs: 38
; NumVgprs: 38
; ScratchSize: 16
; MemoryBound: 0
; FloatMode: 240
; IeeeMode: 1
; LDSByteSize: 0 bytes/workgroup (compile time only)
; SGPRBlocks: 4
; VGPRBlocks: 9
; NumSGPRsForWavesPerEU: 38
; NumVGPRsForWavesPerEU: 38
; Occupancy: 6
; WaveLimiterHint : 1
; COMPUTE_PGM_RSRC2:SCRATCH_EN: 1
; COMPUTE_PGM_RSRC2:USER_SGPR: 6
; COMPUTE_PGM_RSRC2:TRAP_HANDLER: 0
; COMPUTE_PGM_RSRC2:TGID_X_EN: 1
; COMPUTE_PGM_RSRC2:TGID_Y_EN: 0
; COMPUTE_PGM_RSRC2:TGID_Z_EN: 0
; COMPUTE_PGM_RSRC2:TIDIG_COMP_CNT: 0
	.section	.text._ZL9mul_mat_fI15__hip_bfloat162Li64ELi3ELi6ELb0EEvPKT_PKfPKiPfiiiiiiiiiiiiiiii,"axG",@progbits,_ZL9mul_mat_fI15__hip_bfloat162Li64ELi3ELi6ELb0EEvPKT_PKfPKiPfiiiiiiiiiiiiiiii,comdat
	.globl	_ZL9mul_mat_fI15__hip_bfloat162Li64ELi3ELi6ELb0EEvPKT_PKfPKiPfiiiiiiiiiiiiiiii ; -- Begin function _ZL9mul_mat_fI15__hip_bfloat162Li64ELi3ELi6ELb0EEvPKT_PKfPKiPfiiiiiiiiiiiiiiii
	.p2align	8
	.type	_ZL9mul_mat_fI15__hip_bfloat162Li64ELi3ELi6ELb0EEvPKT_PKfPKiPfiiiiiiiiiiiiiiii,@function
_ZL9mul_mat_fI15__hip_bfloat162Li64ELi3ELi6ELb0EEvPKT_PKfPKiPfiiiiiiiiiiiiiiii: ; @_ZL9mul_mat_fI15__hip_bfloat162Li64ELi3ELi6ELb0EEvPKT_PKfPKiPfiiiiiiiiiiiiiiii
; %bb.0:
	s_add_u32 s0, s0, s7
	s_addc_u32 s1, s1, 0
	s_add_u32 s8, s4, 0x60
	s_addc_u32 s9, s5, 0
	s_getpc_b64 s[4:5]
	s_add_u32 s4, s4, __FUNCTION__._ZL9mul_mat_fIfLi32ELi3ELi1ELb1EEvPKT_PKfPKiPfiiiiiiiiiiiiiiii@rel32@lo+4
	s_addc_u32 s5, s5, __FUNCTION__._ZL9mul_mat_fIfLi32ELi3ELi1ELb1EEvPKT_PKfPKiPfiiiiiiiiiiiiiiii@rel32@hi+12
	s_getpc_b64 s[6:7]
	s_add_u32 s6, s6, _ZL14no_device_codePKciS0_iS0_@rel32@lo+4
	s_addc_u32 s7, s7, _ZL14no_device_codePKciS0_iS0_@rel32@hi+12
	v_mov_b32_e32 v0, 0x124
	v_mov_b32_e32 v1, s4
	;; [unrolled: 1-line block ×3, first 2 shown]
	s_mov_b32 s32, 0
	s_swappc_b64 s[30:31], s[6:7]
	.section	.rodata,"a",@progbits
	.p2align	6, 0x0
	.amdhsa_kernel _ZL9mul_mat_fI15__hip_bfloat162Li64ELi3ELi6ELb0EEvPKT_PKfPKiPfiiiiiiiiiiiiiiii
		.amdhsa_group_segment_fixed_size 0
		.amdhsa_private_segment_fixed_size 16
		.amdhsa_kernarg_size 352
		.amdhsa_user_sgpr_count 6
		.amdhsa_user_sgpr_private_segment_buffer 1
		.amdhsa_user_sgpr_dispatch_ptr 0
		.amdhsa_user_sgpr_queue_ptr 0
		.amdhsa_user_sgpr_kernarg_segment_ptr 1
		.amdhsa_user_sgpr_dispatch_id 0
		.amdhsa_user_sgpr_flat_scratch_init 0
		.amdhsa_user_sgpr_private_segment_size 0
		.amdhsa_uses_dynamic_stack 0
		.amdhsa_system_sgpr_private_segment_wavefront_offset 1
		.amdhsa_system_sgpr_workgroup_id_x 1
		.amdhsa_system_sgpr_workgroup_id_y 0
		.amdhsa_system_sgpr_workgroup_id_z 0
		.amdhsa_system_sgpr_workgroup_info 0
		.amdhsa_system_vgpr_workitem_id 0
		.amdhsa_next_free_vgpr 38
		.amdhsa_next_free_sgpr 34
		.amdhsa_reserve_vcc 1
		.amdhsa_reserve_flat_scratch 0
		.amdhsa_float_round_mode_32 0
		.amdhsa_float_round_mode_16_64 0
		.amdhsa_float_denorm_mode_32 3
		.amdhsa_float_denorm_mode_16_64 3
		.amdhsa_dx10_clamp 1
		.amdhsa_ieee_mode 1
		.amdhsa_fp16_overflow 0
		.amdhsa_exception_fp_ieee_invalid_op 0
		.amdhsa_exception_fp_denorm_src 0
		.amdhsa_exception_fp_ieee_div_zero 0
		.amdhsa_exception_fp_ieee_overflow 0
		.amdhsa_exception_fp_ieee_underflow 0
		.amdhsa_exception_fp_ieee_inexact 0
		.amdhsa_exception_int_div_zero 0
	.end_amdhsa_kernel
	.section	.text._ZL9mul_mat_fI15__hip_bfloat162Li64ELi3ELi6ELb0EEvPKT_PKfPKiPfiiiiiiiiiiiiiiii,"axG",@progbits,_ZL9mul_mat_fI15__hip_bfloat162Li64ELi3ELi6ELb0EEvPKT_PKfPKiPfiiiiiiiiiiiiiiii,comdat
.Lfunc_end140:
	.size	_ZL9mul_mat_fI15__hip_bfloat162Li64ELi3ELi6ELb0EEvPKT_PKfPKiPfiiiiiiiiiiiiiiii, .Lfunc_end140-_ZL9mul_mat_fI15__hip_bfloat162Li64ELi3ELi6ELb0EEvPKT_PKfPKiPfiiiiiiiiiiiiiiii
                                        ; -- End function
	.set _ZL9mul_mat_fI15__hip_bfloat162Li64ELi3ELi6ELb0EEvPKT_PKfPKiPfiiiiiiiiiiiiiiii.num_vgpr, max(3, .L_ZL14no_device_codePKciS0_iS0_.num_vgpr)
	.set _ZL9mul_mat_fI15__hip_bfloat162Li64ELi3ELi6ELb0EEvPKT_PKfPKiPfiiiiiiiiiiiiiiii.num_agpr, max(0, .L_ZL14no_device_codePKciS0_iS0_.num_agpr)
	.set _ZL9mul_mat_fI15__hip_bfloat162Li64ELi3ELi6ELb0EEvPKT_PKfPKiPfiiiiiiiiiiiiiiii.numbered_sgpr, max(33, .L_ZL14no_device_codePKciS0_iS0_.numbered_sgpr)
	.set _ZL9mul_mat_fI15__hip_bfloat162Li64ELi3ELi6ELb0EEvPKT_PKfPKiPfiiiiiiiiiiiiiiii.num_named_barrier, max(0, .L_ZL14no_device_codePKciS0_iS0_.num_named_barrier)
	.set _ZL9mul_mat_fI15__hip_bfloat162Li64ELi3ELi6ELb0EEvPKT_PKfPKiPfiiiiiiiiiiiiiiii.private_seg_size, 0+max(.L_ZL14no_device_codePKciS0_iS0_.private_seg_size)
	.set _ZL9mul_mat_fI15__hip_bfloat162Li64ELi3ELi6ELb0EEvPKT_PKfPKiPfiiiiiiiiiiiiiiii.uses_vcc, or(1, .L_ZL14no_device_codePKciS0_iS0_.uses_vcc)
	.set _ZL9mul_mat_fI15__hip_bfloat162Li64ELi3ELi6ELb0EEvPKT_PKfPKiPfiiiiiiiiiiiiiiii.uses_flat_scratch, or(0, .L_ZL14no_device_codePKciS0_iS0_.uses_flat_scratch)
	.set _ZL9mul_mat_fI15__hip_bfloat162Li64ELi3ELi6ELb0EEvPKT_PKfPKiPfiiiiiiiiiiiiiiii.has_dyn_sized_stack, or(0, .L_ZL14no_device_codePKciS0_iS0_.has_dyn_sized_stack)
	.set _ZL9mul_mat_fI15__hip_bfloat162Li64ELi3ELi6ELb0EEvPKT_PKfPKiPfiiiiiiiiiiiiiiii.has_recursion, or(0, .L_ZL14no_device_codePKciS0_iS0_.has_recursion)
	.set _ZL9mul_mat_fI15__hip_bfloat162Li64ELi3ELi6ELb0EEvPKT_PKfPKiPfiiiiiiiiiiiiiiii.has_indirect_call, or(0, .L_ZL14no_device_codePKciS0_iS0_.has_indirect_call)
	.section	.AMDGPU.csdata,"",@progbits
; Kernel info:
; codeLenInByte = 84
; TotalNumSgprs: 38
; NumVgprs: 38
; ScratchSize: 16
; MemoryBound: 0
; FloatMode: 240
; IeeeMode: 1
; LDSByteSize: 0 bytes/workgroup (compile time only)
; SGPRBlocks: 4
; VGPRBlocks: 9
; NumSGPRsForWavesPerEU: 38
; NumVGPRsForWavesPerEU: 38
; Occupancy: 6
; WaveLimiterHint : 1
; COMPUTE_PGM_RSRC2:SCRATCH_EN: 1
; COMPUTE_PGM_RSRC2:USER_SGPR: 6
; COMPUTE_PGM_RSRC2:TRAP_HANDLER: 0
; COMPUTE_PGM_RSRC2:TGID_X_EN: 1
; COMPUTE_PGM_RSRC2:TGID_Y_EN: 0
; COMPUTE_PGM_RSRC2:TGID_Z_EN: 0
; COMPUTE_PGM_RSRC2:TIDIG_COMP_CNT: 0
	.section	.text._ZL13mul_mat_f_idsI15__hip_bfloat162Li64ELi3ELi7EEvPKT_PKfPKiS7_S7_Pfiiiiiiiiiiiiii15HIP_vector_typeIjLj3EESA_,"axG",@progbits,_ZL13mul_mat_f_idsI15__hip_bfloat162Li64ELi3ELi7EEvPKT_PKfPKiS7_S7_Pfiiiiiiiiiiiiii15HIP_vector_typeIjLj3EESA_,comdat
	.globl	_ZL13mul_mat_f_idsI15__hip_bfloat162Li64ELi3ELi7EEvPKT_PKfPKiS7_S7_Pfiiiiiiiiiiiiii15HIP_vector_typeIjLj3EESA_ ; -- Begin function _ZL13mul_mat_f_idsI15__hip_bfloat162Li64ELi3ELi7EEvPKT_PKfPKiS7_S7_Pfiiiiiiiiiiiiii15HIP_vector_typeIjLj3EESA_
	.p2align	8
	.type	_ZL13mul_mat_f_idsI15__hip_bfloat162Li64ELi3ELi7EEvPKT_PKfPKiS7_S7_Pfiiiiiiiiiiiiii15HIP_vector_typeIjLj3EESA_,@function
_ZL13mul_mat_f_idsI15__hip_bfloat162Li64ELi3ELi7EEvPKT_PKfPKiS7_S7_Pfiiiiiiiiiiiiii15HIP_vector_typeIjLj3EESA_: ; @_ZL13mul_mat_f_idsI15__hip_bfloat162Li64ELi3ELi7EEvPKT_PKfPKiS7_S7_Pfiiiiiiiiiiiiii15HIP_vector_typeIjLj3EESA_
; %bb.0:
	s_add_u32 s0, s0, s7
	s_addc_u32 s1, s1, 0
	s_add_u32 s8, s4, 0x80
	s_addc_u32 s9, s5, 0
	s_getpc_b64 s[4:5]
	s_add_u32 s4, s4, __FUNCTION__._ZL13mul_mat_f_idsIfLi32ELi3ELi1EEvPKT_PKfPKiS6_S6_Pfiiiiiiiiiiiiii15HIP_vector_typeIjLj3EES9_@rel32@lo+4
	s_addc_u32 s5, s5, __FUNCTION__._ZL13mul_mat_f_idsIfLi32ELi3ELi1EEvPKT_PKfPKiS6_S6_Pfiiiiiiiiiiiiii15HIP_vector_typeIjLj3EES9_@rel32@hi+12
	s_getpc_b64 s[6:7]
	s_add_u32 s6, s6, _ZL14no_device_codePKciS0_iS0_@rel32@lo+4
	s_addc_u32 s7, s7, _ZL14no_device_codePKciS0_iS0_@rel32@hi+12
	v_mov_b32_e32 v0, 0x238
	v_mov_b32_e32 v1, s4
	;; [unrolled: 1-line block ×3, first 2 shown]
	s_mov_b32 s32, 0
	s_swappc_b64 s[30:31], s[6:7]
	.section	.rodata,"a",@progbits
	.p2align	6, 0x0
	.amdhsa_kernel _ZL13mul_mat_f_idsI15__hip_bfloat162Li64ELi3ELi7EEvPKT_PKfPKiS7_S7_Pfiiiiiiiiiiiiii15HIP_vector_typeIjLj3EESA_
		.amdhsa_group_segment_fixed_size 0
		.amdhsa_private_segment_fixed_size 16
		.amdhsa_kernarg_size 384
		.amdhsa_user_sgpr_count 6
		.amdhsa_user_sgpr_private_segment_buffer 1
		.amdhsa_user_sgpr_dispatch_ptr 0
		.amdhsa_user_sgpr_queue_ptr 0
		.amdhsa_user_sgpr_kernarg_segment_ptr 1
		.amdhsa_user_sgpr_dispatch_id 0
		.amdhsa_user_sgpr_flat_scratch_init 0
		.amdhsa_user_sgpr_private_segment_size 0
		.amdhsa_uses_dynamic_stack 0
		.amdhsa_system_sgpr_private_segment_wavefront_offset 1
		.amdhsa_system_sgpr_workgroup_id_x 1
		.amdhsa_system_sgpr_workgroup_id_y 0
		.amdhsa_system_sgpr_workgroup_id_z 0
		.amdhsa_system_sgpr_workgroup_info 0
		.amdhsa_system_vgpr_workitem_id 0
		.amdhsa_next_free_vgpr 38
		.amdhsa_next_free_sgpr 34
		.amdhsa_reserve_vcc 1
		.amdhsa_reserve_flat_scratch 0
		.amdhsa_float_round_mode_32 0
		.amdhsa_float_round_mode_16_64 0
		.amdhsa_float_denorm_mode_32 3
		.amdhsa_float_denorm_mode_16_64 3
		.amdhsa_dx10_clamp 1
		.amdhsa_ieee_mode 1
		.amdhsa_fp16_overflow 0
		.amdhsa_exception_fp_ieee_invalid_op 0
		.amdhsa_exception_fp_denorm_src 0
		.amdhsa_exception_fp_ieee_div_zero 0
		.amdhsa_exception_fp_ieee_overflow 0
		.amdhsa_exception_fp_ieee_underflow 0
		.amdhsa_exception_fp_ieee_inexact 0
		.amdhsa_exception_int_div_zero 0
	.end_amdhsa_kernel
	.section	.text._ZL13mul_mat_f_idsI15__hip_bfloat162Li64ELi3ELi7EEvPKT_PKfPKiS7_S7_Pfiiiiiiiiiiiiii15HIP_vector_typeIjLj3EESA_,"axG",@progbits,_ZL13mul_mat_f_idsI15__hip_bfloat162Li64ELi3ELi7EEvPKT_PKfPKiS7_S7_Pfiiiiiiiiiiiiii15HIP_vector_typeIjLj3EESA_,comdat
.Lfunc_end141:
	.size	_ZL13mul_mat_f_idsI15__hip_bfloat162Li64ELi3ELi7EEvPKT_PKfPKiS7_S7_Pfiiiiiiiiiiiiii15HIP_vector_typeIjLj3EESA_, .Lfunc_end141-_ZL13mul_mat_f_idsI15__hip_bfloat162Li64ELi3ELi7EEvPKT_PKfPKiS7_S7_Pfiiiiiiiiiiiiii15HIP_vector_typeIjLj3EESA_
                                        ; -- End function
	.set _ZL13mul_mat_f_idsI15__hip_bfloat162Li64ELi3ELi7EEvPKT_PKfPKiS7_S7_Pfiiiiiiiiiiiiii15HIP_vector_typeIjLj3EESA_.num_vgpr, max(3, .L_ZL14no_device_codePKciS0_iS0_.num_vgpr)
	.set _ZL13mul_mat_f_idsI15__hip_bfloat162Li64ELi3ELi7EEvPKT_PKfPKiS7_S7_Pfiiiiiiiiiiiiii15HIP_vector_typeIjLj3EESA_.num_agpr, max(0, .L_ZL14no_device_codePKciS0_iS0_.num_agpr)
	.set _ZL13mul_mat_f_idsI15__hip_bfloat162Li64ELi3ELi7EEvPKT_PKfPKiS7_S7_Pfiiiiiiiiiiiiii15HIP_vector_typeIjLj3EESA_.numbered_sgpr, max(33, .L_ZL14no_device_codePKciS0_iS0_.numbered_sgpr)
	.set _ZL13mul_mat_f_idsI15__hip_bfloat162Li64ELi3ELi7EEvPKT_PKfPKiS7_S7_Pfiiiiiiiiiiiiii15HIP_vector_typeIjLj3EESA_.num_named_barrier, max(0, .L_ZL14no_device_codePKciS0_iS0_.num_named_barrier)
	.set _ZL13mul_mat_f_idsI15__hip_bfloat162Li64ELi3ELi7EEvPKT_PKfPKiS7_S7_Pfiiiiiiiiiiiiii15HIP_vector_typeIjLj3EESA_.private_seg_size, 0+max(.L_ZL14no_device_codePKciS0_iS0_.private_seg_size)
	.set _ZL13mul_mat_f_idsI15__hip_bfloat162Li64ELi3ELi7EEvPKT_PKfPKiS7_S7_Pfiiiiiiiiiiiiii15HIP_vector_typeIjLj3EESA_.uses_vcc, or(1, .L_ZL14no_device_codePKciS0_iS0_.uses_vcc)
	.set _ZL13mul_mat_f_idsI15__hip_bfloat162Li64ELi3ELi7EEvPKT_PKfPKiS7_S7_Pfiiiiiiiiiiiiii15HIP_vector_typeIjLj3EESA_.uses_flat_scratch, or(0, .L_ZL14no_device_codePKciS0_iS0_.uses_flat_scratch)
	.set _ZL13mul_mat_f_idsI15__hip_bfloat162Li64ELi3ELi7EEvPKT_PKfPKiS7_S7_Pfiiiiiiiiiiiiii15HIP_vector_typeIjLj3EESA_.has_dyn_sized_stack, or(0, .L_ZL14no_device_codePKciS0_iS0_.has_dyn_sized_stack)
	.set _ZL13mul_mat_f_idsI15__hip_bfloat162Li64ELi3ELi7EEvPKT_PKfPKiS7_S7_Pfiiiiiiiiiiiiii15HIP_vector_typeIjLj3EESA_.has_recursion, or(0, .L_ZL14no_device_codePKciS0_iS0_.has_recursion)
	.set _ZL13mul_mat_f_idsI15__hip_bfloat162Li64ELi3ELi7EEvPKT_PKfPKiS7_S7_Pfiiiiiiiiiiiiii15HIP_vector_typeIjLj3EESA_.has_indirect_call, or(0, .L_ZL14no_device_codePKciS0_iS0_.has_indirect_call)
	.section	.AMDGPU.csdata,"",@progbits
; Kernel info:
; codeLenInByte = 84
; TotalNumSgprs: 38
; NumVgprs: 38
; ScratchSize: 16
; MemoryBound: 0
; FloatMode: 240
; IeeeMode: 1
; LDSByteSize: 0 bytes/workgroup (compile time only)
; SGPRBlocks: 4
; VGPRBlocks: 9
; NumSGPRsForWavesPerEU: 38
; NumVGPRsForWavesPerEU: 38
; Occupancy: 6
; WaveLimiterHint : 1
; COMPUTE_PGM_RSRC2:SCRATCH_EN: 1
; COMPUTE_PGM_RSRC2:USER_SGPR: 6
; COMPUTE_PGM_RSRC2:TRAP_HANDLER: 0
; COMPUTE_PGM_RSRC2:TGID_X_EN: 1
; COMPUTE_PGM_RSRC2:TGID_Y_EN: 0
; COMPUTE_PGM_RSRC2:TGID_Z_EN: 0
; COMPUTE_PGM_RSRC2:TIDIG_COMP_CNT: 0
	.section	.text._ZL9mul_mat_fI15__hip_bfloat162Li64ELi3ELi7ELb1EEvPKT_PKfPKiPfiiiiiiiiiiiiiiii,"axG",@progbits,_ZL9mul_mat_fI15__hip_bfloat162Li64ELi3ELi7ELb1EEvPKT_PKfPKiPfiiiiiiiiiiiiiiii,comdat
	.globl	_ZL9mul_mat_fI15__hip_bfloat162Li64ELi3ELi7ELb1EEvPKT_PKfPKiPfiiiiiiiiiiiiiiii ; -- Begin function _ZL9mul_mat_fI15__hip_bfloat162Li64ELi3ELi7ELb1EEvPKT_PKfPKiPfiiiiiiiiiiiiiiii
	.p2align	8
	.type	_ZL9mul_mat_fI15__hip_bfloat162Li64ELi3ELi7ELb1EEvPKT_PKfPKiPfiiiiiiiiiiiiiiii,@function
_ZL9mul_mat_fI15__hip_bfloat162Li64ELi3ELi7ELb1EEvPKT_PKfPKiPfiiiiiiiiiiiiiiii: ; @_ZL9mul_mat_fI15__hip_bfloat162Li64ELi3ELi7ELb1EEvPKT_PKfPKiPfiiiiiiiiiiiiiiii
; %bb.0:
	s_add_u32 s0, s0, s7
	s_addc_u32 s1, s1, 0
	s_add_u32 s8, s4, 0x60
	s_addc_u32 s9, s5, 0
	s_getpc_b64 s[4:5]
	s_add_u32 s4, s4, __FUNCTION__._ZL9mul_mat_fIfLi32ELi3ELi1ELb1EEvPKT_PKfPKiPfiiiiiiiiiiiiiiii@rel32@lo+4
	s_addc_u32 s5, s5, __FUNCTION__._ZL9mul_mat_fIfLi32ELi3ELi1ELb1EEvPKT_PKfPKiPfiiiiiiiiiiiiiiii@rel32@hi+12
	s_getpc_b64 s[6:7]
	s_add_u32 s6, s6, _ZL14no_device_codePKciS0_iS0_@rel32@lo+4
	s_addc_u32 s7, s7, _ZL14no_device_codePKciS0_iS0_@rel32@hi+12
	v_mov_b32_e32 v0, 0x124
	v_mov_b32_e32 v1, s4
	v_mov_b32_e32 v2, s5
	s_mov_b32 s32, 0
	s_swappc_b64 s[30:31], s[6:7]
	.section	.rodata,"a",@progbits
	.p2align	6, 0x0
	.amdhsa_kernel _ZL9mul_mat_fI15__hip_bfloat162Li64ELi3ELi7ELb1EEvPKT_PKfPKiPfiiiiiiiiiiiiiiii
		.amdhsa_group_segment_fixed_size 0
		.amdhsa_private_segment_fixed_size 16
		.amdhsa_kernarg_size 352
		.amdhsa_user_sgpr_count 6
		.amdhsa_user_sgpr_private_segment_buffer 1
		.amdhsa_user_sgpr_dispatch_ptr 0
		.amdhsa_user_sgpr_queue_ptr 0
		.amdhsa_user_sgpr_kernarg_segment_ptr 1
		.amdhsa_user_sgpr_dispatch_id 0
		.amdhsa_user_sgpr_flat_scratch_init 0
		.amdhsa_user_sgpr_private_segment_size 0
		.amdhsa_uses_dynamic_stack 0
		.amdhsa_system_sgpr_private_segment_wavefront_offset 1
		.amdhsa_system_sgpr_workgroup_id_x 1
		.amdhsa_system_sgpr_workgroup_id_y 0
		.amdhsa_system_sgpr_workgroup_id_z 0
		.amdhsa_system_sgpr_workgroup_info 0
		.amdhsa_system_vgpr_workitem_id 0
		.amdhsa_next_free_vgpr 38
		.amdhsa_next_free_sgpr 34
		.amdhsa_reserve_vcc 1
		.amdhsa_reserve_flat_scratch 0
		.amdhsa_float_round_mode_32 0
		.amdhsa_float_round_mode_16_64 0
		.amdhsa_float_denorm_mode_32 3
		.amdhsa_float_denorm_mode_16_64 3
		.amdhsa_dx10_clamp 1
		.amdhsa_ieee_mode 1
		.amdhsa_fp16_overflow 0
		.amdhsa_exception_fp_ieee_invalid_op 0
		.amdhsa_exception_fp_denorm_src 0
		.amdhsa_exception_fp_ieee_div_zero 0
		.amdhsa_exception_fp_ieee_overflow 0
		.amdhsa_exception_fp_ieee_underflow 0
		.amdhsa_exception_fp_ieee_inexact 0
		.amdhsa_exception_int_div_zero 0
	.end_amdhsa_kernel
	.section	.text._ZL9mul_mat_fI15__hip_bfloat162Li64ELi3ELi7ELb1EEvPKT_PKfPKiPfiiiiiiiiiiiiiiii,"axG",@progbits,_ZL9mul_mat_fI15__hip_bfloat162Li64ELi3ELi7ELb1EEvPKT_PKfPKiPfiiiiiiiiiiiiiiii,comdat
.Lfunc_end142:
	.size	_ZL9mul_mat_fI15__hip_bfloat162Li64ELi3ELi7ELb1EEvPKT_PKfPKiPfiiiiiiiiiiiiiiii, .Lfunc_end142-_ZL9mul_mat_fI15__hip_bfloat162Li64ELi3ELi7ELb1EEvPKT_PKfPKiPfiiiiiiiiiiiiiiii
                                        ; -- End function
	.set _ZL9mul_mat_fI15__hip_bfloat162Li64ELi3ELi7ELb1EEvPKT_PKfPKiPfiiiiiiiiiiiiiiii.num_vgpr, max(3, .L_ZL14no_device_codePKciS0_iS0_.num_vgpr)
	.set _ZL9mul_mat_fI15__hip_bfloat162Li64ELi3ELi7ELb1EEvPKT_PKfPKiPfiiiiiiiiiiiiiiii.num_agpr, max(0, .L_ZL14no_device_codePKciS0_iS0_.num_agpr)
	.set _ZL9mul_mat_fI15__hip_bfloat162Li64ELi3ELi7ELb1EEvPKT_PKfPKiPfiiiiiiiiiiiiiiii.numbered_sgpr, max(33, .L_ZL14no_device_codePKciS0_iS0_.numbered_sgpr)
	.set _ZL9mul_mat_fI15__hip_bfloat162Li64ELi3ELi7ELb1EEvPKT_PKfPKiPfiiiiiiiiiiiiiiii.num_named_barrier, max(0, .L_ZL14no_device_codePKciS0_iS0_.num_named_barrier)
	.set _ZL9mul_mat_fI15__hip_bfloat162Li64ELi3ELi7ELb1EEvPKT_PKfPKiPfiiiiiiiiiiiiiiii.private_seg_size, 0+max(.L_ZL14no_device_codePKciS0_iS0_.private_seg_size)
	.set _ZL9mul_mat_fI15__hip_bfloat162Li64ELi3ELi7ELb1EEvPKT_PKfPKiPfiiiiiiiiiiiiiiii.uses_vcc, or(1, .L_ZL14no_device_codePKciS0_iS0_.uses_vcc)
	.set _ZL9mul_mat_fI15__hip_bfloat162Li64ELi3ELi7ELb1EEvPKT_PKfPKiPfiiiiiiiiiiiiiiii.uses_flat_scratch, or(0, .L_ZL14no_device_codePKciS0_iS0_.uses_flat_scratch)
	.set _ZL9mul_mat_fI15__hip_bfloat162Li64ELi3ELi7ELb1EEvPKT_PKfPKiPfiiiiiiiiiiiiiiii.has_dyn_sized_stack, or(0, .L_ZL14no_device_codePKciS0_iS0_.has_dyn_sized_stack)
	.set _ZL9mul_mat_fI15__hip_bfloat162Li64ELi3ELi7ELb1EEvPKT_PKfPKiPfiiiiiiiiiiiiiiii.has_recursion, or(0, .L_ZL14no_device_codePKciS0_iS0_.has_recursion)
	.set _ZL9mul_mat_fI15__hip_bfloat162Li64ELi3ELi7ELb1EEvPKT_PKfPKiPfiiiiiiiiiiiiiiii.has_indirect_call, or(0, .L_ZL14no_device_codePKciS0_iS0_.has_indirect_call)
	.section	.AMDGPU.csdata,"",@progbits
; Kernel info:
; codeLenInByte = 84
; TotalNumSgprs: 38
; NumVgprs: 38
; ScratchSize: 16
; MemoryBound: 0
; FloatMode: 240
; IeeeMode: 1
; LDSByteSize: 0 bytes/workgroup (compile time only)
; SGPRBlocks: 4
; VGPRBlocks: 9
; NumSGPRsForWavesPerEU: 38
; NumVGPRsForWavesPerEU: 38
; Occupancy: 6
; WaveLimiterHint : 1
; COMPUTE_PGM_RSRC2:SCRATCH_EN: 1
; COMPUTE_PGM_RSRC2:USER_SGPR: 6
; COMPUTE_PGM_RSRC2:TRAP_HANDLER: 0
; COMPUTE_PGM_RSRC2:TGID_X_EN: 1
; COMPUTE_PGM_RSRC2:TGID_Y_EN: 0
; COMPUTE_PGM_RSRC2:TGID_Z_EN: 0
; COMPUTE_PGM_RSRC2:TIDIG_COMP_CNT: 0
	.section	.text._ZL9mul_mat_fI15__hip_bfloat162Li64ELi3ELi7ELb0EEvPKT_PKfPKiPfiiiiiiiiiiiiiiii,"axG",@progbits,_ZL9mul_mat_fI15__hip_bfloat162Li64ELi3ELi7ELb0EEvPKT_PKfPKiPfiiiiiiiiiiiiiiii,comdat
	.globl	_ZL9mul_mat_fI15__hip_bfloat162Li64ELi3ELi7ELb0EEvPKT_PKfPKiPfiiiiiiiiiiiiiiii ; -- Begin function _ZL9mul_mat_fI15__hip_bfloat162Li64ELi3ELi7ELb0EEvPKT_PKfPKiPfiiiiiiiiiiiiiiii
	.p2align	8
	.type	_ZL9mul_mat_fI15__hip_bfloat162Li64ELi3ELi7ELb0EEvPKT_PKfPKiPfiiiiiiiiiiiiiiii,@function
_ZL9mul_mat_fI15__hip_bfloat162Li64ELi3ELi7ELb0EEvPKT_PKfPKiPfiiiiiiiiiiiiiiii: ; @_ZL9mul_mat_fI15__hip_bfloat162Li64ELi3ELi7ELb0EEvPKT_PKfPKiPfiiiiiiiiiiiiiiii
; %bb.0:
	s_add_u32 s0, s0, s7
	s_addc_u32 s1, s1, 0
	s_add_u32 s8, s4, 0x60
	s_addc_u32 s9, s5, 0
	s_getpc_b64 s[4:5]
	s_add_u32 s4, s4, __FUNCTION__._ZL9mul_mat_fIfLi32ELi3ELi1ELb1EEvPKT_PKfPKiPfiiiiiiiiiiiiiiii@rel32@lo+4
	s_addc_u32 s5, s5, __FUNCTION__._ZL9mul_mat_fIfLi32ELi3ELi1ELb1EEvPKT_PKfPKiPfiiiiiiiiiiiiiiii@rel32@hi+12
	s_getpc_b64 s[6:7]
	s_add_u32 s6, s6, _ZL14no_device_codePKciS0_iS0_@rel32@lo+4
	s_addc_u32 s7, s7, _ZL14no_device_codePKciS0_iS0_@rel32@hi+12
	v_mov_b32_e32 v0, 0x124
	v_mov_b32_e32 v1, s4
	;; [unrolled: 1-line block ×3, first 2 shown]
	s_mov_b32 s32, 0
	s_swappc_b64 s[30:31], s[6:7]
	.section	.rodata,"a",@progbits
	.p2align	6, 0x0
	.amdhsa_kernel _ZL9mul_mat_fI15__hip_bfloat162Li64ELi3ELi7ELb0EEvPKT_PKfPKiPfiiiiiiiiiiiiiiii
		.amdhsa_group_segment_fixed_size 0
		.amdhsa_private_segment_fixed_size 16
		.amdhsa_kernarg_size 352
		.amdhsa_user_sgpr_count 6
		.amdhsa_user_sgpr_private_segment_buffer 1
		.amdhsa_user_sgpr_dispatch_ptr 0
		.amdhsa_user_sgpr_queue_ptr 0
		.amdhsa_user_sgpr_kernarg_segment_ptr 1
		.amdhsa_user_sgpr_dispatch_id 0
		.amdhsa_user_sgpr_flat_scratch_init 0
		.amdhsa_user_sgpr_private_segment_size 0
		.amdhsa_uses_dynamic_stack 0
		.amdhsa_system_sgpr_private_segment_wavefront_offset 1
		.amdhsa_system_sgpr_workgroup_id_x 1
		.amdhsa_system_sgpr_workgroup_id_y 0
		.amdhsa_system_sgpr_workgroup_id_z 0
		.amdhsa_system_sgpr_workgroup_info 0
		.amdhsa_system_vgpr_workitem_id 0
		.amdhsa_next_free_vgpr 38
		.amdhsa_next_free_sgpr 34
		.amdhsa_reserve_vcc 1
		.amdhsa_reserve_flat_scratch 0
		.amdhsa_float_round_mode_32 0
		.amdhsa_float_round_mode_16_64 0
		.amdhsa_float_denorm_mode_32 3
		.amdhsa_float_denorm_mode_16_64 3
		.amdhsa_dx10_clamp 1
		.amdhsa_ieee_mode 1
		.amdhsa_fp16_overflow 0
		.amdhsa_exception_fp_ieee_invalid_op 0
		.amdhsa_exception_fp_denorm_src 0
		.amdhsa_exception_fp_ieee_div_zero 0
		.amdhsa_exception_fp_ieee_overflow 0
		.amdhsa_exception_fp_ieee_underflow 0
		.amdhsa_exception_fp_ieee_inexact 0
		.amdhsa_exception_int_div_zero 0
	.end_amdhsa_kernel
	.section	.text._ZL9mul_mat_fI15__hip_bfloat162Li64ELi3ELi7ELb0EEvPKT_PKfPKiPfiiiiiiiiiiiiiiii,"axG",@progbits,_ZL9mul_mat_fI15__hip_bfloat162Li64ELi3ELi7ELb0EEvPKT_PKfPKiPfiiiiiiiiiiiiiiii,comdat
.Lfunc_end143:
	.size	_ZL9mul_mat_fI15__hip_bfloat162Li64ELi3ELi7ELb0EEvPKT_PKfPKiPfiiiiiiiiiiiiiiii, .Lfunc_end143-_ZL9mul_mat_fI15__hip_bfloat162Li64ELi3ELi7ELb0EEvPKT_PKfPKiPfiiiiiiiiiiiiiiii
                                        ; -- End function
	.set _ZL9mul_mat_fI15__hip_bfloat162Li64ELi3ELi7ELb0EEvPKT_PKfPKiPfiiiiiiiiiiiiiiii.num_vgpr, max(3, .L_ZL14no_device_codePKciS0_iS0_.num_vgpr)
	.set _ZL9mul_mat_fI15__hip_bfloat162Li64ELi3ELi7ELb0EEvPKT_PKfPKiPfiiiiiiiiiiiiiiii.num_agpr, max(0, .L_ZL14no_device_codePKciS0_iS0_.num_agpr)
	.set _ZL9mul_mat_fI15__hip_bfloat162Li64ELi3ELi7ELb0EEvPKT_PKfPKiPfiiiiiiiiiiiiiiii.numbered_sgpr, max(33, .L_ZL14no_device_codePKciS0_iS0_.numbered_sgpr)
	.set _ZL9mul_mat_fI15__hip_bfloat162Li64ELi3ELi7ELb0EEvPKT_PKfPKiPfiiiiiiiiiiiiiiii.num_named_barrier, max(0, .L_ZL14no_device_codePKciS0_iS0_.num_named_barrier)
	.set _ZL9mul_mat_fI15__hip_bfloat162Li64ELi3ELi7ELb0EEvPKT_PKfPKiPfiiiiiiiiiiiiiiii.private_seg_size, 0+max(.L_ZL14no_device_codePKciS0_iS0_.private_seg_size)
	.set _ZL9mul_mat_fI15__hip_bfloat162Li64ELi3ELi7ELb0EEvPKT_PKfPKiPfiiiiiiiiiiiiiiii.uses_vcc, or(1, .L_ZL14no_device_codePKciS0_iS0_.uses_vcc)
	.set _ZL9mul_mat_fI15__hip_bfloat162Li64ELi3ELi7ELb0EEvPKT_PKfPKiPfiiiiiiiiiiiiiiii.uses_flat_scratch, or(0, .L_ZL14no_device_codePKciS0_iS0_.uses_flat_scratch)
	.set _ZL9mul_mat_fI15__hip_bfloat162Li64ELi3ELi7ELb0EEvPKT_PKfPKiPfiiiiiiiiiiiiiiii.has_dyn_sized_stack, or(0, .L_ZL14no_device_codePKciS0_iS0_.has_dyn_sized_stack)
	.set _ZL9mul_mat_fI15__hip_bfloat162Li64ELi3ELi7ELb0EEvPKT_PKfPKiPfiiiiiiiiiiiiiiii.has_recursion, or(0, .L_ZL14no_device_codePKciS0_iS0_.has_recursion)
	.set _ZL9mul_mat_fI15__hip_bfloat162Li64ELi3ELi7ELb0EEvPKT_PKfPKiPfiiiiiiiiiiiiiiii.has_indirect_call, or(0, .L_ZL14no_device_codePKciS0_iS0_.has_indirect_call)
	.section	.AMDGPU.csdata,"",@progbits
; Kernel info:
; codeLenInByte = 84
; TotalNumSgprs: 38
; NumVgprs: 38
; ScratchSize: 16
; MemoryBound: 0
; FloatMode: 240
; IeeeMode: 1
; LDSByteSize: 0 bytes/workgroup (compile time only)
; SGPRBlocks: 4
; VGPRBlocks: 9
; NumSGPRsForWavesPerEU: 38
; NumVGPRsForWavesPerEU: 38
; Occupancy: 6
; WaveLimiterHint : 1
; COMPUTE_PGM_RSRC2:SCRATCH_EN: 1
; COMPUTE_PGM_RSRC2:USER_SGPR: 6
; COMPUTE_PGM_RSRC2:TRAP_HANDLER: 0
; COMPUTE_PGM_RSRC2:TGID_X_EN: 1
; COMPUTE_PGM_RSRC2:TGID_Y_EN: 0
; COMPUTE_PGM_RSRC2:TGID_Z_EN: 0
; COMPUTE_PGM_RSRC2:TIDIG_COMP_CNT: 0
	.section	.text._ZL13mul_mat_f_idsI15__hip_bfloat162Li64ELi3ELi8EEvPKT_PKfPKiS7_S7_Pfiiiiiiiiiiiiii15HIP_vector_typeIjLj3EESA_,"axG",@progbits,_ZL13mul_mat_f_idsI15__hip_bfloat162Li64ELi3ELi8EEvPKT_PKfPKiS7_S7_Pfiiiiiiiiiiiiii15HIP_vector_typeIjLj3EESA_,comdat
	.globl	_ZL13mul_mat_f_idsI15__hip_bfloat162Li64ELi3ELi8EEvPKT_PKfPKiS7_S7_Pfiiiiiiiiiiiiii15HIP_vector_typeIjLj3EESA_ ; -- Begin function _ZL13mul_mat_f_idsI15__hip_bfloat162Li64ELi3ELi8EEvPKT_PKfPKiS7_S7_Pfiiiiiiiiiiiiii15HIP_vector_typeIjLj3EESA_
	.p2align	8
	.type	_ZL13mul_mat_f_idsI15__hip_bfloat162Li64ELi3ELi8EEvPKT_PKfPKiS7_S7_Pfiiiiiiiiiiiiii15HIP_vector_typeIjLj3EESA_,@function
_ZL13mul_mat_f_idsI15__hip_bfloat162Li64ELi3ELi8EEvPKT_PKfPKiS7_S7_Pfiiiiiiiiiiiiii15HIP_vector_typeIjLj3EESA_: ; @_ZL13mul_mat_f_idsI15__hip_bfloat162Li64ELi3ELi8EEvPKT_PKfPKiS7_S7_Pfiiiiiiiiiiiiii15HIP_vector_typeIjLj3EESA_
; %bb.0:
	s_add_u32 s0, s0, s7
	s_addc_u32 s1, s1, 0
	s_add_u32 s8, s4, 0x80
	s_addc_u32 s9, s5, 0
	s_getpc_b64 s[4:5]
	s_add_u32 s4, s4, __FUNCTION__._ZL13mul_mat_f_idsIfLi32ELi3ELi1EEvPKT_PKfPKiS6_S6_Pfiiiiiiiiiiiiii15HIP_vector_typeIjLj3EES9_@rel32@lo+4
	s_addc_u32 s5, s5, __FUNCTION__._ZL13mul_mat_f_idsIfLi32ELi3ELi1EEvPKT_PKfPKiS6_S6_Pfiiiiiiiiiiiiii15HIP_vector_typeIjLj3EES9_@rel32@hi+12
	s_getpc_b64 s[6:7]
	s_add_u32 s6, s6, _ZL14no_device_codePKciS0_iS0_@rel32@lo+4
	s_addc_u32 s7, s7, _ZL14no_device_codePKciS0_iS0_@rel32@hi+12
	v_mov_b32_e32 v0, 0x238
	v_mov_b32_e32 v1, s4
	;; [unrolled: 1-line block ×3, first 2 shown]
	s_mov_b32 s32, 0
	s_swappc_b64 s[30:31], s[6:7]
	.section	.rodata,"a",@progbits
	.p2align	6, 0x0
	.amdhsa_kernel _ZL13mul_mat_f_idsI15__hip_bfloat162Li64ELi3ELi8EEvPKT_PKfPKiS7_S7_Pfiiiiiiiiiiiiii15HIP_vector_typeIjLj3EESA_
		.amdhsa_group_segment_fixed_size 0
		.amdhsa_private_segment_fixed_size 16
		.amdhsa_kernarg_size 384
		.amdhsa_user_sgpr_count 6
		.amdhsa_user_sgpr_private_segment_buffer 1
		.amdhsa_user_sgpr_dispatch_ptr 0
		.amdhsa_user_sgpr_queue_ptr 0
		.amdhsa_user_sgpr_kernarg_segment_ptr 1
		.amdhsa_user_sgpr_dispatch_id 0
		.amdhsa_user_sgpr_flat_scratch_init 0
		.amdhsa_user_sgpr_private_segment_size 0
		.amdhsa_uses_dynamic_stack 0
		.amdhsa_system_sgpr_private_segment_wavefront_offset 1
		.amdhsa_system_sgpr_workgroup_id_x 1
		.amdhsa_system_sgpr_workgroup_id_y 0
		.amdhsa_system_sgpr_workgroup_id_z 0
		.amdhsa_system_sgpr_workgroup_info 0
		.amdhsa_system_vgpr_workitem_id 0
		.amdhsa_next_free_vgpr 38
		.amdhsa_next_free_sgpr 34
		.amdhsa_reserve_vcc 1
		.amdhsa_reserve_flat_scratch 0
		.amdhsa_float_round_mode_32 0
		.amdhsa_float_round_mode_16_64 0
		.amdhsa_float_denorm_mode_32 3
		.amdhsa_float_denorm_mode_16_64 3
		.amdhsa_dx10_clamp 1
		.amdhsa_ieee_mode 1
		.amdhsa_fp16_overflow 0
		.amdhsa_exception_fp_ieee_invalid_op 0
		.amdhsa_exception_fp_denorm_src 0
		.amdhsa_exception_fp_ieee_div_zero 0
		.amdhsa_exception_fp_ieee_overflow 0
		.amdhsa_exception_fp_ieee_underflow 0
		.amdhsa_exception_fp_ieee_inexact 0
		.amdhsa_exception_int_div_zero 0
	.end_amdhsa_kernel
	.section	.text._ZL13mul_mat_f_idsI15__hip_bfloat162Li64ELi3ELi8EEvPKT_PKfPKiS7_S7_Pfiiiiiiiiiiiiii15HIP_vector_typeIjLj3EESA_,"axG",@progbits,_ZL13mul_mat_f_idsI15__hip_bfloat162Li64ELi3ELi8EEvPKT_PKfPKiS7_S7_Pfiiiiiiiiiiiiii15HIP_vector_typeIjLj3EESA_,comdat
.Lfunc_end144:
	.size	_ZL13mul_mat_f_idsI15__hip_bfloat162Li64ELi3ELi8EEvPKT_PKfPKiS7_S7_Pfiiiiiiiiiiiiii15HIP_vector_typeIjLj3EESA_, .Lfunc_end144-_ZL13mul_mat_f_idsI15__hip_bfloat162Li64ELi3ELi8EEvPKT_PKfPKiS7_S7_Pfiiiiiiiiiiiiii15HIP_vector_typeIjLj3EESA_
                                        ; -- End function
	.set _ZL13mul_mat_f_idsI15__hip_bfloat162Li64ELi3ELi8EEvPKT_PKfPKiS7_S7_Pfiiiiiiiiiiiiii15HIP_vector_typeIjLj3EESA_.num_vgpr, max(3, .L_ZL14no_device_codePKciS0_iS0_.num_vgpr)
	.set _ZL13mul_mat_f_idsI15__hip_bfloat162Li64ELi3ELi8EEvPKT_PKfPKiS7_S7_Pfiiiiiiiiiiiiii15HIP_vector_typeIjLj3EESA_.num_agpr, max(0, .L_ZL14no_device_codePKciS0_iS0_.num_agpr)
	.set _ZL13mul_mat_f_idsI15__hip_bfloat162Li64ELi3ELi8EEvPKT_PKfPKiS7_S7_Pfiiiiiiiiiiiiii15HIP_vector_typeIjLj3EESA_.numbered_sgpr, max(33, .L_ZL14no_device_codePKciS0_iS0_.numbered_sgpr)
	.set _ZL13mul_mat_f_idsI15__hip_bfloat162Li64ELi3ELi8EEvPKT_PKfPKiS7_S7_Pfiiiiiiiiiiiiii15HIP_vector_typeIjLj3EESA_.num_named_barrier, max(0, .L_ZL14no_device_codePKciS0_iS0_.num_named_barrier)
	.set _ZL13mul_mat_f_idsI15__hip_bfloat162Li64ELi3ELi8EEvPKT_PKfPKiS7_S7_Pfiiiiiiiiiiiiii15HIP_vector_typeIjLj3EESA_.private_seg_size, 0+max(.L_ZL14no_device_codePKciS0_iS0_.private_seg_size)
	.set _ZL13mul_mat_f_idsI15__hip_bfloat162Li64ELi3ELi8EEvPKT_PKfPKiS7_S7_Pfiiiiiiiiiiiiii15HIP_vector_typeIjLj3EESA_.uses_vcc, or(1, .L_ZL14no_device_codePKciS0_iS0_.uses_vcc)
	.set _ZL13mul_mat_f_idsI15__hip_bfloat162Li64ELi3ELi8EEvPKT_PKfPKiS7_S7_Pfiiiiiiiiiiiiii15HIP_vector_typeIjLj3EESA_.uses_flat_scratch, or(0, .L_ZL14no_device_codePKciS0_iS0_.uses_flat_scratch)
	.set _ZL13mul_mat_f_idsI15__hip_bfloat162Li64ELi3ELi8EEvPKT_PKfPKiS7_S7_Pfiiiiiiiiiiiiii15HIP_vector_typeIjLj3EESA_.has_dyn_sized_stack, or(0, .L_ZL14no_device_codePKciS0_iS0_.has_dyn_sized_stack)
	.set _ZL13mul_mat_f_idsI15__hip_bfloat162Li64ELi3ELi8EEvPKT_PKfPKiS7_S7_Pfiiiiiiiiiiiiii15HIP_vector_typeIjLj3EESA_.has_recursion, or(0, .L_ZL14no_device_codePKciS0_iS0_.has_recursion)
	.set _ZL13mul_mat_f_idsI15__hip_bfloat162Li64ELi3ELi8EEvPKT_PKfPKiS7_S7_Pfiiiiiiiiiiiiii15HIP_vector_typeIjLj3EESA_.has_indirect_call, or(0, .L_ZL14no_device_codePKciS0_iS0_.has_indirect_call)
	.section	.AMDGPU.csdata,"",@progbits
; Kernel info:
; codeLenInByte = 84
; TotalNumSgprs: 38
; NumVgprs: 38
; ScratchSize: 16
; MemoryBound: 0
; FloatMode: 240
; IeeeMode: 1
; LDSByteSize: 0 bytes/workgroup (compile time only)
; SGPRBlocks: 4
; VGPRBlocks: 9
; NumSGPRsForWavesPerEU: 38
; NumVGPRsForWavesPerEU: 38
; Occupancy: 6
; WaveLimiterHint : 1
; COMPUTE_PGM_RSRC2:SCRATCH_EN: 1
; COMPUTE_PGM_RSRC2:USER_SGPR: 6
; COMPUTE_PGM_RSRC2:TRAP_HANDLER: 0
; COMPUTE_PGM_RSRC2:TGID_X_EN: 1
; COMPUTE_PGM_RSRC2:TGID_Y_EN: 0
; COMPUTE_PGM_RSRC2:TGID_Z_EN: 0
; COMPUTE_PGM_RSRC2:TIDIG_COMP_CNT: 0
	.section	.text._ZL9mul_mat_fI15__hip_bfloat162Li64ELi3ELi8ELb1EEvPKT_PKfPKiPfiiiiiiiiiiiiiiii,"axG",@progbits,_ZL9mul_mat_fI15__hip_bfloat162Li64ELi3ELi8ELb1EEvPKT_PKfPKiPfiiiiiiiiiiiiiiii,comdat
	.globl	_ZL9mul_mat_fI15__hip_bfloat162Li64ELi3ELi8ELb1EEvPKT_PKfPKiPfiiiiiiiiiiiiiiii ; -- Begin function _ZL9mul_mat_fI15__hip_bfloat162Li64ELi3ELi8ELb1EEvPKT_PKfPKiPfiiiiiiiiiiiiiiii
	.p2align	8
	.type	_ZL9mul_mat_fI15__hip_bfloat162Li64ELi3ELi8ELb1EEvPKT_PKfPKiPfiiiiiiiiiiiiiiii,@function
_ZL9mul_mat_fI15__hip_bfloat162Li64ELi3ELi8ELb1EEvPKT_PKfPKiPfiiiiiiiiiiiiiiii: ; @_ZL9mul_mat_fI15__hip_bfloat162Li64ELi3ELi8ELb1EEvPKT_PKfPKiPfiiiiiiiiiiiiiiii
; %bb.0:
	s_add_u32 s0, s0, s7
	s_addc_u32 s1, s1, 0
	s_add_u32 s8, s4, 0x60
	s_addc_u32 s9, s5, 0
	s_getpc_b64 s[4:5]
	s_add_u32 s4, s4, __FUNCTION__._ZL9mul_mat_fIfLi32ELi3ELi1ELb1EEvPKT_PKfPKiPfiiiiiiiiiiiiiiii@rel32@lo+4
	s_addc_u32 s5, s5, __FUNCTION__._ZL9mul_mat_fIfLi32ELi3ELi1ELb1EEvPKT_PKfPKiPfiiiiiiiiiiiiiiii@rel32@hi+12
	s_getpc_b64 s[6:7]
	s_add_u32 s6, s6, _ZL14no_device_codePKciS0_iS0_@rel32@lo+4
	s_addc_u32 s7, s7, _ZL14no_device_codePKciS0_iS0_@rel32@hi+12
	v_mov_b32_e32 v0, 0x124
	v_mov_b32_e32 v1, s4
	;; [unrolled: 1-line block ×3, first 2 shown]
	s_mov_b32 s32, 0
	s_swappc_b64 s[30:31], s[6:7]
	.section	.rodata,"a",@progbits
	.p2align	6, 0x0
	.amdhsa_kernel _ZL9mul_mat_fI15__hip_bfloat162Li64ELi3ELi8ELb1EEvPKT_PKfPKiPfiiiiiiiiiiiiiiii
		.amdhsa_group_segment_fixed_size 0
		.amdhsa_private_segment_fixed_size 16
		.amdhsa_kernarg_size 352
		.amdhsa_user_sgpr_count 6
		.amdhsa_user_sgpr_private_segment_buffer 1
		.amdhsa_user_sgpr_dispatch_ptr 0
		.amdhsa_user_sgpr_queue_ptr 0
		.amdhsa_user_sgpr_kernarg_segment_ptr 1
		.amdhsa_user_sgpr_dispatch_id 0
		.amdhsa_user_sgpr_flat_scratch_init 0
		.amdhsa_user_sgpr_private_segment_size 0
		.amdhsa_uses_dynamic_stack 0
		.amdhsa_system_sgpr_private_segment_wavefront_offset 1
		.amdhsa_system_sgpr_workgroup_id_x 1
		.amdhsa_system_sgpr_workgroup_id_y 0
		.amdhsa_system_sgpr_workgroup_id_z 0
		.amdhsa_system_sgpr_workgroup_info 0
		.amdhsa_system_vgpr_workitem_id 0
		.amdhsa_next_free_vgpr 38
		.amdhsa_next_free_sgpr 34
		.amdhsa_reserve_vcc 1
		.amdhsa_reserve_flat_scratch 0
		.amdhsa_float_round_mode_32 0
		.amdhsa_float_round_mode_16_64 0
		.amdhsa_float_denorm_mode_32 3
		.amdhsa_float_denorm_mode_16_64 3
		.amdhsa_dx10_clamp 1
		.amdhsa_ieee_mode 1
		.amdhsa_fp16_overflow 0
		.amdhsa_exception_fp_ieee_invalid_op 0
		.amdhsa_exception_fp_denorm_src 0
		.amdhsa_exception_fp_ieee_div_zero 0
		.amdhsa_exception_fp_ieee_overflow 0
		.amdhsa_exception_fp_ieee_underflow 0
		.amdhsa_exception_fp_ieee_inexact 0
		.amdhsa_exception_int_div_zero 0
	.end_amdhsa_kernel
	.section	.text._ZL9mul_mat_fI15__hip_bfloat162Li64ELi3ELi8ELb1EEvPKT_PKfPKiPfiiiiiiiiiiiiiiii,"axG",@progbits,_ZL9mul_mat_fI15__hip_bfloat162Li64ELi3ELi8ELb1EEvPKT_PKfPKiPfiiiiiiiiiiiiiiii,comdat
.Lfunc_end145:
	.size	_ZL9mul_mat_fI15__hip_bfloat162Li64ELi3ELi8ELb1EEvPKT_PKfPKiPfiiiiiiiiiiiiiiii, .Lfunc_end145-_ZL9mul_mat_fI15__hip_bfloat162Li64ELi3ELi8ELb1EEvPKT_PKfPKiPfiiiiiiiiiiiiiiii
                                        ; -- End function
	.set _ZL9mul_mat_fI15__hip_bfloat162Li64ELi3ELi8ELb1EEvPKT_PKfPKiPfiiiiiiiiiiiiiiii.num_vgpr, max(3, .L_ZL14no_device_codePKciS0_iS0_.num_vgpr)
	.set _ZL9mul_mat_fI15__hip_bfloat162Li64ELi3ELi8ELb1EEvPKT_PKfPKiPfiiiiiiiiiiiiiiii.num_agpr, max(0, .L_ZL14no_device_codePKciS0_iS0_.num_agpr)
	.set _ZL9mul_mat_fI15__hip_bfloat162Li64ELi3ELi8ELb1EEvPKT_PKfPKiPfiiiiiiiiiiiiiiii.numbered_sgpr, max(33, .L_ZL14no_device_codePKciS0_iS0_.numbered_sgpr)
	.set _ZL9mul_mat_fI15__hip_bfloat162Li64ELi3ELi8ELb1EEvPKT_PKfPKiPfiiiiiiiiiiiiiiii.num_named_barrier, max(0, .L_ZL14no_device_codePKciS0_iS0_.num_named_barrier)
	.set _ZL9mul_mat_fI15__hip_bfloat162Li64ELi3ELi8ELb1EEvPKT_PKfPKiPfiiiiiiiiiiiiiiii.private_seg_size, 0+max(.L_ZL14no_device_codePKciS0_iS0_.private_seg_size)
	.set _ZL9mul_mat_fI15__hip_bfloat162Li64ELi3ELi8ELb1EEvPKT_PKfPKiPfiiiiiiiiiiiiiiii.uses_vcc, or(1, .L_ZL14no_device_codePKciS0_iS0_.uses_vcc)
	.set _ZL9mul_mat_fI15__hip_bfloat162Li64ELi3ELi8ELb1EEvPKT_PKfPKiPfiiiiiiiiiiiiiiii.uses_flat_scratch, or(0, .L_ZL14no_device_codePKciS0_iS0_.uses_flat_scratch)
	.set _ZL9mul_mat_fI15__hip_bfloat162Li64ELi3ELi8ELb1EEvPKT_PKfPKiPfiiiiiiiiiiiiiiii.has_dyn_sized_stack, or(0, .L_ZL14no_device_codePKciS0_iS0_.has_dyn_sized_stack)
	.set _ZL9mul_mat_fI15__hip_bfloat162Li64ELi3ELi8ELb1EEvPKT_PKfPKiPfiiiiiiiiiiiiiiii.has_recursion, or(0, .L_ZL14no_device_codePKciS0_iS0_.has_recursion)
	.set _ZL9mul_mat_fI15__hip_bfloat162Li64ELi3ELi8ELb1EEvPKT_PKfPKiPfiiiiiiiiiiiiiiii.has_indirect_call, or(0, .L_ZL14no_device_codePKciS0_iS0_.has_indirect_call)
	.section	.AMDGPU.csdata,"",@progbits
; Kernel info:
; codeLenInByte = 84
; TotalNumSgprs: 38
; NumVgprs: 38
; ScratchSize: 16
; MemoryBound: 0
; FloatMode: 240
; IeeeMode: 1
; LDSByteSize: 0 bytes/workgroup (compile time only)
; SGPRBlocks: 4
; VGPRBlocks: 9
; NumSGPRsForWavesPerEU: 38
; NumVGPRsForWavesPerEU: 38
; Occupancy: 6
; WaveLimiterHint : 1
; COMPUTE_PGM_RSRC2:SCRATCH_EN: 1
; COMPUTE_PGM_RSRC2:USER_SGPR: 6
; COMPUTE_PGM_RSRC2:TRAP_HANDLER: 0
; COMPUTE_PGM_RSRC2:TGID_X_EN: 1
; COMPUTE_PGM_RSRC2:TGID_Y_EN: 0
; COMPUTE_PGM_RSRC2:TGID_Z_EN: 0
; COMPUTE_PGM_RSRC2:TIDIG_COMP_CNT: 0
	.section	.text._ZL9mul_mat_fI15__hip_bfloat162Li64ELi3ELi8ELb0EEvPKT_PKfPKiPfiiiiiiiiiiiiiiii,"axG",@progbits,_ZL9mul_mat_fI15__hip_bfloat162Li64ELi3ELi8ELb0EEvPKT_PKfPKiPfiiiiiiiiiiiiiiii,comdat
	.globl	_ZL9mul_mat_fI15__hip_bfloat162Li64ELi3ELi8ELb0EEvPKT_PKfPKiPfiiiiiiiiiiiiiiii ; -- Begin function _ZL9mul_mat_fI15__hip_bfloat162Li64ELi3ELi8ELb0EEvPKT_PKfPKiPfiiiiiiiiiiiiiiii
	.p2align	8
	.type	_ZL9mul_mat_fI15__hip_bfloat162Li64ELi3ELi8ELb0EEvPKT_PKfPKiPfiiiiiiiiiiiiiiii,@function
_ZL9mul_mat_fI15__hip_bfloat162Li64ELi3ELi8ELb0EEvPKT_PKfPKiPfiiiiiiiiiiiiiiii: ; @_ZL9mul_mat_fI15__hip_bfloat162Li64ELi3ELi8ELb0EEvPKT_PKfPKiPfiiiiiiiiiiiiiiii
; %bb.0:
	s_add_u32 s0, s0, s7
	s_addc_u32 s1, s1, 0
	s_add_u32 s8, s4, 0x60
	s_addc_u32 s9, s5, 0
	s_getpc_b64 s[4:5]
	s_add_u32 s4, s4, __FUNCTION__._ZL9mul_mat_fIfLi32ELi3ELi1ELb1EEvPKT_PKfPKiPfiiiiiiiiiiiiiiii@rel32@lo+4
	s_addc_u32 s5, s5, __FUNCTION__._ZL9mul_mat_fIfLi32ELi3ELi1ELb1EEvPKT_PKfPKiPfiiiiiiiiiiiiiiii@rel32@hi+12
	s_getpc_b64 s[6:7]
	s_add_u32 s6, s6, _ZL14no_device_codePKciS0_iS0_@rel32@lo+4
	s_addc_u32 s7, s7, _ZL14no_device_codePKciS0_iS0_@rel32@hi+12
	v_mov_b32_e32 v0, 0x124
	v_mov_b32_e32 v1, s4
	;; [unrolled: 1-line block ×3, first 2 shown]
	s_mov_b32 s32, 0
	s_swappc_b64 s[30:31], s[6:7]
	.section	.rodata,"a",@progbits
	.p2align	6, 0x0
	.amdhsa_kernel _ZL9mul_mat_fI15__hip_bfloat162Li64ELi3ELi8ELb0EEvPKT_PKfPKiPfiiiiiiiiiiiiiiii
		.amdhsa_group_segment_fixed_size 0
		.amdhsa_private_segment_fixed_size 16
		.amdhsa_kernarg_size 352
		.amdhsa_user_sgpr_count 6
		.amdhsa_user_sgpr_private_segment_buffer 1
		.amdhsa_user_sgpr_dispatch_ptr 0
		.amdhsa_user_sgpr_queue_ptr 0
		.amdhsa_user_sgpr_kernarg_segment_ptr 1
		.amdhsa_user_sgpr_dispatch_id 0
		.amdhsa_user_sgpr_flat_scratch_init 0
		.amdhsa_user_sgpr_private_segment_size 0
		.amdhsa_uses_dynamic_stack 0
		.amdhsa_system_sgpr_private_segment_wavefront_offset 1
		.amdhsa_system_sgpr_workgroup_id_x 1
		.amdhsa_system_sgpr_workgroup_id_y 0
		.amdhsa_system_sgpr_workgroup_id_z 0
		.amdhsa_system_sgpr_workgroup_info 0
		.amdhsa_system_vgpr_workitem_id 0
		.amdhsa_next_free_vgpr 38
		.amdhsa_next_free_sgpr 34
		.amdhsa_reserve_vcc 1
		.amdhsa_reserve_flat_scratch 0
		.amdhsa_float_round_mode_32 0
		.amdhsa_float_round_mode_16_64 0
		.amdhsa_float_denorm_mode_32 3
		.amdhsa_float_denorm_mode_16_64 3
		.amdhsa_dx10_clamp 1
		.amdhsa_ieee_mode 1
		.amdhsa_fp16_overflow 0
		.amdhsa_exception_fp_ieee_invalid_op 0
		.amdhsa_exception_fp_denorm_src 0
		.amdhsa_exception_fp_ieee_div_zero 0
		.amdhsa_exception_fp_ieee_overflow 0
		.amdhsa_exception_fp_ieee_underflow 0
		.amdhsa_exception_fp_ieee_inexact 0
		.amdhsa_exception_int_div_zero 0
	.end_amdhsa_kernel
	.section	.text._ZL9mul_mat_fI15__hip_bfloat162Li64ELi3ELi8ELb0EEvPKT_PKfPKiPfiiiiiiiiiiiiiiii,"axG",@progbits,_ZL9mul_mat_fI15__hip_bfloat162Li64ELi3ELi8ELb0EEvPKT_PKfPKiPfiiiiiiiiiiiiiiii,comdat
.Lfunc_end146:
	.size	_ZL9mul_mat_fI15__hip_bfloat162Li64ELi3ELi8ELb0EEvPKT_PKfPKiPfiiiiiiiiiiiiiiii, .Lfunc_end146-_ZL9mul_mat_fI15__hip_bfloat162Li64ELi3ELi8ELb0EEvPKT_PKfPKiPfiiiiiiiiiiiiiiii
                                        ; -- End function
	.set _ZL9mul_mat_fI15__hip_bfloat162Li64ELi3ELi8ELb0EEvPKT_PKfPKiPfiiiiiiiiiiiiiiii.num_vgpr, max(3, .L_ZL14no_device_codePKciS0_iS0_.num_vgpr)
	.set _ZL9mul_mat_fI15__hip_bfloat162Li64ELi3ELi8ELb0EEvPKT_PKfPKiPfiiiiiiiiiiiiiiii.num_agpr, max(0, .L_ZL14no_device_codePKciS0_iS0_.num_agpr)
	.set _ZL9mul_mat_fI15__hip_bfloat162Li64ELi3ELi8ELb0EEvPKT_PKfPKiPfiiiiiiiiiiiiiiii.numbered_sgpr, max(33, .L_ZL14no_device_codePKciS0_iS0_.numbered_sgpr)
	.set _ZL9mul_mat_fI15__hip_bfloat162Li64ELi3ELi8ELb0EEvPKT_PKfPKiPfiiiiiiiiiiiiiiii.num_named_barrier, max(0, .L_ZL14no_device_codePKciS0_iS0_.num_named_barrier)
	.set _ZL9mul_mat_fI15__hip_bfloat162Li64ELi3ELi8ELb0EEvPKT_PKfPKiPfiiiiiiiiiiiiiiii.private_seg_size, 0+max(.L_ZL14no_device_codePKciS0_iS0_.private_seg_size)
	.set _ZL9mul_mat_fI15__hip_bfloat162Li64ELi3ELi8ELb0EEvPKT_PKfPKiPfiiiiiiiiiiiiiiii.uses_vcc, or(1, .L_ZL14no_device_codePKciS0_iS0_.uses_vcc)
	.set _ZL9mul_mat_fI15__hip_bfloat162Li64ELi3ELi8ELb0EEvPKT_PKfPKiPfiiiiiiiiiiiiiiii.uses_flat_scratch, or(0, .L_ZL14no_device_codePKciS0_iS0_.uses_flat_scratch)
	.set _ZL9mul_mat_fI15__hip_bfloat162Li64ELi3ELi8ELb0EEvPKT_PKfPKiPfiiiiiiiiiiiiiiii.has_dyn_sized_stack, or(0, .L_ZL14no_device_codePKciS0_iS0_.has_dyn_sized_stack)
	.set _ZL9mul_mat_fI15__hip_bfloat162Li64ELi3ELi8ELb0EEvPKT_PKfPKiPfiiiiiiiiiiiiiiii.has_recursion, or(0, .L_ZL14no_device_codePKciS0_iS0_.has_recursion)
	.set _ZL9mul_mat_fI15__hip_bfloat162Li64ELi3ELi8ELb0EEvPKT_PKfPKiPfiiiiiiiiiiiiiiii.has_indirect_call, or(0, .L_ZL14no_device_codePKciS0_iS0_.has_indirect_call)
	.section	.AMDGPU.csdata,"",@progbits
; Kernel info:
; codeLenInByte = 84
; TotalNumSgprs: 38
; NumVgprs: 38
; ScratchSize: 16
; MemoryBound: 0
; FloatMode: 240
; IeeeMode: 1
; LDSByteSize: 0 bytes/workgroup (compile time only)
; SGPRBlocks: 4
; VGPRBlocks: 9
; NumSGPRsForWavesPerEU: 38
; NumVGPRsForWavesPerEU: 38
; Occupancy: 6
; WaveLimiterHint : 1
; COMPUTE_PGM_RSRC2:SCRATCH_EN: 1
; COMPUTE_PGM_RSRC2:USER_SGPR: 6
; COMPUTE_PGM_RSRC2:TRAP_HANDLER: 0
; COMPUTE_PGM_RSRC2:TGID_X_EN: 1
; COMPUTE_PGM_RSRC2:TGID_Y_EN: 0
; COMPUTE_PGM_RSRC2:TGID_Z_EN: 0
; COMPUTE_PGM_RSRC2:TIDIG_COMP_CNT: 0
	.section	.AMDGPU.gpr_maximums,"",@progbits
	.set amdgpu.max_num_vgpr, 38
	.set amdgpu.max_num_agpr, 0
	.set amdgpu.max_num_sgpr, 34
	.section	.AMDGPU.csdata,"",@progbits
	.type	.str,@object                    ; @.str
	.section	.rodata.str1.1,"aMS",@progbits,1
.str:
	.asciz	"/root/src/amdgpu-assembly/repos/ggml-org__llama.cpp/ggml/src/ggml-cuda/template-instances/../mmf.cuh"
	.size	.str, 101

	.type	__FUNCTION__._ZL13mul_mat_f_idsIfLi32ELi3ELi1EEvPKT_PKfPKiS6_S6_Pfiiiiiiiiiiiiii15HIP_vector_typeIjLj3EES9_,@object ; @__FUNCTION__._ZL13mul_mat_f_idsIfLi32ELi3ELi1EEvPKT_PKfPKiS6_S6_Pfiiiiiiiiiiiiii15HIP_vector_typeIjLj3EES9_
__FUNCTION__._ZL13mul_mat_f_idsIfLi32ELi3ELi1EEvPKT_PKfPKiS6_S6_Pfiiiiiiiiiiiiii15HIP_vector_typeIjLj3EES9_:
	.asciz	"mul_mat_f_ids"
	.size	__FUNCTION__._ZL13mul_mat_f_idsIfLi32ELi3ELi1EEvPKT_PKfPKiS6_S6_Pfiiiiiiiiiiiiii15HIP_vector_typeIjLj3EES9_, 14

	.type	.str.2,@object                  ; @.str.2
.str.2:
	.asciz	"%s:%d: ERROR: HIP kernel %s has no device code compatible with HIP arch %d.\n"
	.size	.str.2, 77

	.type	__FUNCTION__._ZL9mul_mat_fIfLi32ELi3ELi1ELb1EEvPKT_PKfPKiPfiiiiiiiiiiiiiiii,@object ; @__FUNCTION__._ZL9mul_mat_fIfLi32ELi3ELi1ELb1EEvPKT_PKfPKiPfiiiiiiiiiiiiiiii
__FUNCTION__._ZL9mul_mat_fIfLi32ELi3ELi1ELb1EEvPKT_PKfPKiPfiiiiiiiiiiiiiiii:
	.asciz	"mul_mat_f"
	.size	__FUNCTION__._ZL9mul_mat_fIfLi32ELi3ELi1ELb1EEvPKT_PKfPKiPfiiiiiiiiiiiiiiii, 10

	.type	__hip_cuid_743d3076fb67b6c9,@object ; @__hip_cuid_743d3076fb67b6c9
	.section	.bss,"aw",@nobits
	.globl	__hip_cuid_743d3076fb67b6c9
__hip_cuid_743d3076fb67b6c9:
	.byte	0                               ; 0x0
	.size	__hip_cuid_743d3076fb67b6c9, 1

	.ident	"AMD clang version 22.0.0git (https://github.com/RadeonOpenCompute/llvm-project roc-7.2.4 26084 f58b06dce1f9c15707c5f808fd002e18c2accf7e)"
	.section	".note.GNU-stack","",@progbits
	.addrsig
	.addrsig_sym __hip_cuid_743d3076fb67b6c9
	.amdgpu_metadata
---
amdhsa.kernels:
  - .args:
      - .actual_access:  read_only
        .address_space:  global
        .offset:         0
        .size:           8
        .value_kind:     global_buffer
      - .actual_access:  read_only
        .address_space:  global
        .offset:         8
        .size:           8
        .value_kind:     global_buffer
      - .actual_access:  read_only
        .address_space:  global
        .offset:         16
        .size:           8
        .value_kind:     global_buffer
      - .actual_access:  read_only
        .address_space:  global
        .offset:         24
        .size:           8
        .value_kind:     global_buffer
      - .actual_access:  read_only
        .address_space:  global
        .offset:         32
        .size:           8
        .value_kind:     global_buffer
      - .actual_access:  read_only
        .address_space:  global
        .offset:         40
        .size:           8
        .value_kind:     global_buffer
      - .offset:         48
        .size:           4
        .value_kind:     by_value
      - .offset:         52
        .size:           4
        .value_kind:     by_value
      - .offset:         56
        .size:           4
        .value_kind:     by_value
      - .offset:         60
        .size:           4
        .value_kind:     by_value
      - .offset:         64
        .size:           4
        .value_kind:     by_value
      - .offset:         68
        .size:           4
        .value_kind:     by_value
      - .offset:         72
        .size:           4
        .value_kind:     by_value
      - .offset:         76
        .size:           4
        .value_kind:     by_value
      - .offset:         80
        .size:           4
        .value_kind:     by_value
      - .offset:         84
        .size:           4
        .value_kind:     by_value
      - .offset:         88
        .size:           4
        .value_kind:     by_value
      - .offset:         92
        .size:           4
        .value_kind:     by_value
      - .offset:         96
        .size:           4
        .value_kind:     by_value
      - .offset:         100
        .size:           4
        .value_kind:     by_value
      - .offset:         104
        .size:           12
        .value_kind:     by_value
      - .offset:         116
        .size:           12
        .value_kind:     by_value
      - .offset:         128
        .size:           4
        .value_kind:     hidden_block_count_x
      - .offset:         132
        .size:           4
        .value_kind:     hidden_block_count_y
      - .offset:         136
        .size:           4
        .value_kind:     hidden_block_count_z
      - .offset:         140
        .size:           2
        .value_kind:     hidden_group_size_x
      - .offset:         142
        .size:           2
        .value_kind:     hidden_group_size_y
      - .offset:         144
        .size:           2
        .value_kind:     hidden_group_size_z
      - .offset:         146
        .size:           2
        .value_kind:     hidden_remainder_x
      - .offset:         148
        .size:           2
        .value_kind:     hidden_remainder_y
      - .offset:         150
        .size:           2
        .value_kind:     hidden_remainder_z
      - .offset:         168
        .size:           8
        .value_kind:     hidden_global_offset_x
      - .offset:         176
        .size:           8
        .value_kind:     hidden_global_offset_y
      - .offset:         184
        .size:           8
        .value_kind:     hidden_global_offset_z
      - .offset:         192
        .size:           2
        .value_kind:     hidden_grid_dims
      - .offset:         208
        .size:           8
        .value_kind:     hidden_hostcall_buffer
    .group_segment_fixed_size: 0
    .kernarg_segment_align: 8
    .kernarg_segment_size: 384
    .language:       OpenCL C
    .language_version:
      - 2
      - 0
    .max_flat_workgroup_size: 64
    .name:           _ZL13mul_mat_f_idsIfLi32ELi3ELi1EEvPKT_PKfPKiS6_S6_Pfiiiiiiiiiiiiii15HIP_vector_typeIjLj3EES9_
    .private_segment_fixed_size: 16
    .sgpr_count:     38
    .sgpr_spill_count: 0
    .symbol:         _ZL13mul_mat_f_idsIfLi32ELi3ELi1EEvPKT_PKfPKiS6_S6_Pfiiiiiiiiiiiiii15HIP_vector_typeIjLj3EES9_.kd
    .uniform_work_group_size: 1
    .uses_dynamic_stack: false
    .vgpr_count:     38
    .vgpr_spill_count: 0
    .wavefront_size: 64
  - .args:
      - .actual_access:  read_only
        .address_space:  global
        .offset:         0
        .size:           8
        .value_kind:     global_buffer
      - .actual_access:  read_only
        .address_space:  global
        .offset:         8
        .size:           8
        .value_kind:     global_buffer
      - .actual_access:  read_only
        .address_space:  global
        .offset:         16
        .size:           8
        .value_kind:     global_buffer
      - .actual_access:  read_only
        .address_space:  global
        .offset:         24
        .size:           8
        .value_kind:     global_buffer
      - .offset:         32
        .size:           4
        .value_kind:     by_value
      - .offset:         36
        .size:           4
        .value_kind:     by_value
      - .offset:         40
        .size:           4
        .value_kind:     by_value
      - .offset:         44
        .size:           4
        .value_kind:     by_value
      - .offset:         48
        .size:           4
        .value_kind:     by_value
      - .offset:         52
        .size:           4
        .value_kind:     by_value
      - .offset:         56
        .size:           4
        .value_kind:     by_value
      - .offset:         60
        .size:           4
        .value_kind:     by_value
      - .offset:         64
        .size:           4
        .value_kind:     by_value
      - .offset:         68
        .size:           4
        .value_kind:     by_value
      - .offset:         72
        .size:           4
        .value_kind:     by_value
      - .offset:         76
        .size:           4
        .value_kind:     by_value
      - .offset:         80
        .size:           4
        .value_kind:     by_value
      - .offset:         84
        .size:           4
        .value_kind:     by_value
      - .offset:         88
        .size:           4
        .value_kind:     by_value
      - .offset:         92
        .size:           4
        .value_kind:     by_value
      - .offset:         96
        .size:           4
        .value_kind:     hidden_block_count_x
      - .offset:         100
        .size:           4
        .value_kind:     hidden_block_count_y
      - .offset:         104
        .size:           4
        .value_kind:     hidden_block_count_z
      - .offset:         108
        .size:           2
        .value_kind:     hidden_group_size_x
      - .offset:         110
        .size:           2
        .value_kind:     hidden_group_size_y
      - .offset:         112
        .size:           2
        .value_kind:     hidden_group_size_z
      - .offset:         114
        .size:           2
        .value_kind:     hidden_remainder_x
      - .offset:         116
        .size:           2
        .value_kind:     hidden_remainder_y
      - .offset:         118
        .size:           2
        .value_kind:     hidden_remainder_z
      - .offset:         136
        .size:           8
        .value_kind:     hidden_global_offset_x
      - .offset:         144
        .size:           8
        .value_kind:     hidden_global_offset_y
      - .offset:         152
        .size:           8
        .value_kind:     hidden_global_offset_z
      - .offset:         160
        .size:           2
        .value_kind:     hidden_grid_dims
      - .offset:         176
        .size:           8
        .value_kind:     hidden_hostcall_buffer
    .group_segment_fixed_size: 0
    .kernarg_segment_align: 8
    .kernarg_segment_size: 352
    .language:       OpenCL C
    .language_version:
      - 2
      - 0
    .max_flat_workgroup_size: 64
    .name:           _ZL9mul_mat_fIfLi32ELi3ELi1ELb1EEvPKT_PKfPKiPfiiiiiiiiiiiiiiii
    .private_segment_fixed_size: 16
    .sgpr_count:     38
    .sgpr_spill_count: 0
    .symbol:         _ZL9mul_mat_fIfLi32ELi3ELi1ELb1EEvPKT_PKfPKiPfiiiiiiiiiiiiiiii.kd
    .uniform_work_group_size: 1
    .uses_dynamic_stack: false
    .vgpr_count:     38
    .vgpr_spill_count: 0
    .wavefront_size: 64
  - .args:
      - .actual_access:  read_only
        .address_space:  global
        .offset:         0
        .size:           8
        .value_kind:     global_buffer
      - .actual_access:  read_only
        .address_space:  global
        .offset:         8
        .size:           8
        .value_kind:     global_buffer
      - .actual_access:  read_only
        .address_space:  global
        .offset:         16
        .size:           8
        .value_kind:     global_buffer
      - .actual_access:  read_only
        .address_space:  global
        .offset:         24
        .size:           8
        .value_kind:     global_buffer
      - .offset:         32
        .size:           4
        .value_kind:     by_value
      - .offset:         36
        .size:           4
        .value_kind:     by_value
      - .offset:         40
        .size:           4
        .value_kind:     by_value
      - .offset:         44
        .size:           4
        .value_kind:     by_value
      - .offset:         48
        .size:           4
        .value_kind:     by_value
      - .offset:         52
        .size:           4
        .value_kind:     by_value
      - .offset:         56
        .size:           4
        .value_kind:     by_value
      - .offset:         60
        .size:           4
        .value_kind:     by_value
      - .offset:         64
        .size:           4
        .value_kind:     by_value
      - .offset:         68
        .size:           4
        .value_kind:     by_value
      - .offset:         72
        .size:           4
        .value_kind:     by_value
      - .offset:         76
        .size:           4
        .value_kind:     by_value
      - .offset:         80
        .size:           4
        .value_kind:     by_value
      - .offset:         84
        .size:           4
        .value_kind:     by_value
      - .offset:         88
        .size:           4
        .value_kind:     by_value
      - .offset:         92
        .size:           4
        .value_kind:     by_value
      - .offset:         96
        .size:           4
        .value_kind:     hidden_block_count_x
      - .offset:         100
        .size:           4
        .value_kind:     hidden_block_count_y
      - .offset:         104
        .size:           4
        .value_kind:     hidden_block_count_z
      - .offset:         108
        .size:           2
        .value_kind:     hidden_group_size_x
      - .offset:         110
        .size:           2
        .value_kind:     hidden_group_size_y
      - .offset:         112
        .size:           2
        .value_kind:     hidden_group_size_z
      - .offset:         114
        .size:           2
        .value_kind:     hidden_remainder_x
      - .offset:         116
        .size:           2
        .value_kind:     hidden_remainder_y
      - .offset:         118
        .size:           2
        .value_kind:     hidden_remainder_z
      - .offset:         136
        .size:           8
        .value_kind:     hidden_global_offset_x
      - .offset:         144
        .size:           8
        .value_kind:     hidden_global_offset_y
      - .offset:         152
        .size:           8
        .value_kind:     hidden_global_offset_z
      - .offset:         160
        .size:           2
        .value_kind:     hidden_grid_dims
      - .offset:         176
        .size:           8
        .value_kind:     hidden_hostcall_buffer
    .group_segment_fixed_size: 0
    .kernarg_segment_align: 8
    .kernarg_segment_size: 352
    .language:       OpenCL C
    .language_version:
      - 2
      - 0
    .max_flat_workgroup_size: 64
    .name:           _ZL9mul_mat_fIfLi32ELi3ELi1ELb0EEvPKT_PKfPKiPfiiiiiiiiiiiiiiii
    .private_segment_fixed_size: 16
    .sgpr_count:     38
    .sgpr_spill_count: 0
    .symbol:         _ZL9mul_mat_fIfLi32ELi3ELi1ELb0EEvPKT_PKfPKiPfiiiiiiiiiiiiiiii.kd
    .uniform_work_group_size: 1
    .uses_dynamic_stack: false
    .vgpr_count:     38
    .vgpr_spill_count: 0
    .wavefront_size: 64
  - .args:
      - .actual_access:  read_only
        .address_space:  global
        .offset:         0
        .size:           8
        .value_kind:     global_buffer
      - .actual_access:  read_only
        .address_space:  global
        .offset:         8
        .size:           8
        .value_kind:     global_buffer
      - .actual_access:  read_only
        .address_space:  global
        .offset:         16
        .size:           8
        .value_kind:     global_buffer
      - .actual_access:  read_only
        .address_space:  global
        .offset:         24
        .size:           8
        .value_kind:     global_buffer
      - .actual_access:  read_only
        .address_space:  global
        .offset:         32
        .size:           8
        .value_kind:     global_buffer
      - .actual_access:  read_only
        .address_space:  global
        .offset:         40
        .size:           8
        .value_kind:     global_buffer
      - .offset:         48
        .size:           4
        .value_kind:     by_value
      - .offset:         52
        .size:           4
        .value_kind:     by_value
      - .offset:         56
        .size:           4
        .value_kind:     by_value
      - .offset:         60
        .size:           4
        .value_kind:     by_value
      - .offset:         64
        .size:           4
        .value_kind:     by_value
      - .offset:         68
        .size:           4
        .value_kind:     by_value
      - .offset:         72
        .size:           4
        .value_kind:     by_value
      - .offset:         76
        .size:           4
        .value_kind:     by_value
      - .offset:         80
        .size:           4
        .value_kind:     by_value
      - .offset:         84
        .size:           4
        .value_kind:     by_value
      - .offset:         88
        .size:           4
        .value_kind:     by_value
      - .offset:         92
        .size:           4
        .value_kind:     by_value
      - .offset:         96
        .size:           4
        .value_kind:     by_value
      - .offset:         100
        .size:           4
        .value_kind:     by_value
      - .offset:         104
        .size:           12
        .value_kind:     by_value
      - .offset:         116
        .size:           12
        .value_kind:     by_value
      - .offset:         128
        .size:           4
        .value_kind:     hidden_block_count_x
      - .offset:         132
        .size:           4
        .value_kind:     hidden_block_count_y
      - .offset:         136
        .size:           4
        .value_kind:     hidden_block_count_z
      - .offset:         140
        .size:           2
        .value_kind:     hidden_group_size_x
      - .offset:         142
        .size:           2
        .value_kind:     hidden_group_size_y
      - .offset:         144
        .size:           2
        .value_kind:     hidden_group_size_z
      - .offset:         146
        .size:           2
        .value_kind:     hidden_remainder_x
      - .offset:         148
        .size:           2
        .value_kind:     hidden_remainder_y
      - .offset:         150
        .size:           2
        .value_kind:     hidden_remainder_z
      - .offset:         168
        .size:           8
        .value_kind:     hidden_global_offset_x
      - .offset:         176
        .size:           8
        .value_kind:     hidden_global_offset_y
      - .offset:         184
        .size:           8
        .value_kind:     hidden_global_offset_z
      - .offset:         192
        .size:           2
        .value_kind:     hidden_grid_dims
      - .offset:         208
        .size:           8
        .value_kind:     hidden_hostcall_buffer
    .group_segment_fixed_size: 0
    .kernarg_segment_align: 8
    .kernarg_segment_size: 384
    .language:       OpenCL C
    .language_version:
      - 2
      - 0
    .max_flat_workgroup_size: 128
    .name:           _ZL13mul_mat_f_idsIfLi32ELi3ELi2EEvPKT_PKfPKiS6_S6_Pfiiiiiiiiiiiiii15HIP_vector_typeIjLj3EES9_
    .private_segment_fixed_size: 16
    .sgpr_count:     38
    .sgpr_spill_count: 0
    .symbol:         _ZL13mul_mat_f_idsIfLi32ELi3ELi2EEvPKT_PKfPKiS6_S6_Pfiiiiiiiiiiiiii15HIP_vector_typeIjLj3EES9_.kd
    .uniform_work_group_size: 1
    .uses_dynamic_stack: false
    .vgpr_count:     38
    .vgpr_spill_count: 0
    .wavefront_size: 64
  - .args:
      - .actual_access:  read_only
        .address_space:  global
        .offset:         0
        .size:           8
        .value_kind:     global_buffer
      - .actual_access:  read_only
        .address_space:  global
        .offset:         8
        .size:           8
        .value_kind:     global_buffer
      - .actual_access:  read_only
        .address_space:  global
        .offset:         16
        .size:           8
        .value_kind:     global_buffer
      - .actual_access:  read_only
        .address_space:  global
        .offset:         24
        .size:           8
        .value_kind:     global_buffer
      - .offset:         32
        .size:           4
        .value_kind:     by_value
      - .offset:         36
        .size:           4
        .value_kind:     by_value
      - .offset:         40
        .size:           4
        .value_kind:     by_value
      - .offset:         44
        .size:           4
        .value_kind:     by_value
      - .offset:         48
        .size:           4
        .value_kind:     by_value
      - .offset:         52
        .size:           4
        .value_kind:     by_value
      - .offset:         56
        .size:           4
        .value_kind:     by_value
      - .offset:         60
        .size:           4
        .value_kind:     by_value
      - .offset:         64
        .size:           4
        .value_kind:     by_value
      - .offset:         68
        .size:           4
        .value_kind:     by_value
      - .offset:         72
        .size:           4
        .value_kind:     by_value
      - .offset:         76
        .size:           4
        .value_kind:     by_value
      - .offset:         80
        .size:           4
        .value_kind:     by_value
      - .offset:         84
        .size:           4
        .value_kind:     by_value
      - .offset:         88
        .size:           4
        .value_kind:     by_value
      - .offset:         92
        .size:           4
        .value_kind:     by_value
      - .offset:         96
        .size:           4
        .value_kind:     hidden_block_count_x
      - .offset:         100
        .size:           4
        .value_kind:     hidden_block_count_y
      - .offset:         104
        .size:           4
        .value_kind:     hidden_block_count_z
      - .offset:         108
        .size:           2
        .value_kind:     hidden_group_size_x
      - .offset:         110
        .size:           2
        .value_kind:     hidden_group_size_y
      - .offset:         112
        .size:           2
        .value_kind:     hidden_group_size_z
      - .offset:         114
        .size:           2
        .value_kind:     hidden_remainder_x
      - .offset:         116
        .size:           2
        .value_kind:     hidden_remainder_y
      - .offset:         118
        .size:           2
        .value_kind:     hidden_remainder_z
      - .offset:         136
        .size:           8
        .value_kind:     hidden_global_offset_x
      - .offset:         144
        .size:           8
        .value_kind:     hidden_global_offset_y
      - .offset:         152
        .size:           8
        .value_kind:     hidden_global_offset_z
      - .offset:         160
        .size:           2
        .value_kind:     hidden_grid_dims
      - .offset:         176
        .size:           8
        .value_kind:     hidden_hostcall_buffer
    .group_segment_fixed_size: 0
    .kernarg_segment_align: 8
    .kernarg_segment_size: 352
    .language:       OpenCL C
    .language_version:
      - 2
      - 0
    .max_flat_workgroup_size: 128
    .name:           _ZL9mul_mat_fIfLi32ELi3ELi2ELb1EEvPKT_PKfPKiPfiiiiiiiiiiiiiiii
    .private_segment_fixed_size: 16
    .sgpr_count:     38
    .sgpr_spill_count: 0
    .symbol:         _ZL9mul_mat_fIfLi32ELi3ELi2ELb1EEvPKT_PKfPKiPfiiiiiiiiiiiiiiii.kd
    .uniform_work_group_size: 1
    .uses_dynamic_stack: false
    .vgpr_count:     38
    .vgpr_spill_count: 0
    .wavefront_size: 64
  - .args:
      - .actual_access:  read_only
        .address_space:  global
        .offset:         0
        .size:           8
        .value_kind:     global_buffer
      - .actual_access:  read_only
        .address_space:  global
        .offset:         8
        .size:           8
        .value_kind:     global_buffer
      - .actual_access:  read_only
        .address_space:  global
        .offset:         16
        .size:           8
        .value_kind:     global_buffer
      - .actual_access:  read_only
        .address_space:  global
        .offset:         24
        .size:           8
        .value_kind:     global_buffer
      - .offset:         32
        .size:           4
        .value_kind:     by_value
      - .offset:         36
        .size:           4
        .value_kind:     by_value
      - .offset:         40
        .size:           4
        .value_kind:     by_value
      - .offset:         44
        .size:           4
        .value_kind:     by_value
      - .offset:         48
        .size:           4
        .value_kind:     by_value
      - .offset:         52
        .size:           4
        .value_kind:     by_value
      - .offset:         56
        .size:           4
        .value_kind:     by_value
      - .offset:         60
        .size:           4
        .value_kind:     by_value
      - .offset:         64
        .size:           4
        .value_kind:     by_value
      - .offset:         68
        .size:           4
        .value_kind:     by_value
      - .offset:         72
        .size:           4
        .value_kind:     by_value
      - .offset:         76
        .size:           4
        .value_kind:     by_value
      - .offset:         80
        .size:           4
        .value_kind:     by_value
      - .offset:         84
        .size:           4
        .value_kind:     by_value
      - .offset:         88
        .size:           4
        .value_kind:     by_value
      - .offset:         92
        .size:           4
        .value_kind:     by_value
      - .offset:         96
        .size:           4
        .value_kind:     hidden_block_count_x
      - .offset:         100
        .size:           4
        .value_kind:     hidden_block_count_y
      - .offset:         104
        .size:           4
        .value_kind:     hidden_block_count_z
      - .offset:         108
        .size:           2
        .value_kind:     hidden_group_size_x
      - .offset:         110
        .size:           2
        .value_kind:     hidden_group_size_y
      - .offset:         112
        .size:           2
        .value_kind:     hidden_group_size_z
      - .offset:         114
        .size:           2
        .value_kind:     hidden_remainder_x
      - .offset:         116
        .size:           2
        .value_kind:     hidden_remainder_y
      - .offset:         118
        .size:           2
        .value_kind:     hidden_remainder_z
      - .offset:         136
        .size:           8
        .value_kind:     hidden_global_offset_x
      - .offset:         144
        .size:           8
        .value_kind:     hidden_global_offset_y
      - .offset:         152
        .size:           8
        .value_kind:     hidden_global_offset_z
      - .offset:         160
        .size:           2
        .value_kind:     hidden_grid_dims
      - .offset:         176
        .size:           8
        .value_kind:     hidden_hostcall_buffer
    .group_segment_fixed_size: 0
    .kernarg_segment_align: 8
    .kernarg_segment_size: 352
    .language:       OpenCL C
    .language_version:
      - 2
      - 0
    .max_flat_workgroup_size: 128
    .name:           _ZL9mul_mat_fIfLi32ELi3ELi2ELb0EEvPKT_PKfPKiPfiiiiiiiiiiiiiiii
    .private_segment_fixed_size: 16
    .sgpr_count:     38
    .sgpr_spill_count: 0
    .symbol:         _ZL9mul_mat_fIfLi32ELi3ELi2ELb0EEvPKT_PKfPKiPfiiiiiiiiiiiiiiii.kd
    .uniform_work_group_size: 1
    .uses_dynamic_stack: false
    .vgpr_count:     38
    .vgpr_spill_count: 0
    .wavefront_size: 64
  - .args:
      - .actual_access:  read_only
        .address_space:  global
        .offset:         0
        .size:           8
        .value_kind:     global_buffer
      - .actual_access:  read_only
        .address_space:  global
        .offset:         8
        .size:           8
        .value_kind:     global_buffer
      - .actual_access:  read_only
        .address_space:  global
        .offset:         16
        .size:           8
        .value_kind:     global_buffer
      - .actual_access:  read_only
        .address_space:  global
        .offset:         24
        .size:           8
        .value_kind:     global_buffer
      - .actual_access:  read_only
        .address_space:  global
        .offset:         32
        .size:           8
        .value_kind:     global_buffer
      - .actual_access:  read_only
        .address_space:  global
        .offset:         40
        .size:           8
        .value_kind:     global_buffer
      - .offset:         48
        .size:           4
        .value_kind:     by_value
      - .offset:         52
        .size:           4
        .value_kind:     by_value
      - .offset:         56
        .size:           4
        .value_kind:     by_value
      - .offset:         60
        .size:           4
        .value_kind:     by_value
      - .offset:         64
        .size:           4
        .value_kind:     by_value
      - .offset:         68
        .size:           4
        .value_kind:     by_value
      - .offset:         72
        .size:           4
        .value_kind:     by_value
      - .offset:         76
        .size:           4
        .value_kind:     by_value
      - .offset:         80
        .size:           4
        .value_kind:     by_value
      - .offset:         84
        .size:           4
        .value_kind:     by_value
      - .offset:         88
        .size:           4
        .value_kind:     by_value
      - .offset:         92
        .size:           4
        .value_kind:     by_value
      - .offset:         96
        .size:           4
        .value_kind:     by_value
      - .offset:         100
        .size:           4
        .value_kind:     by_value
      - .offset:         104
        .size:           12
        .value_kind:     by_value
      - .offset:         116
        .size:           12
        .value_kind:     by_value
      - .offset:         128
        .size:           4
        .value_kind:     hidden_block_count_x
      - .offset:         132
        .size:           4
        .value_kind:     hidden_block_count_y
      - .offset:         136
        .size:           4
        .value_kind:     hidden_block_count_z
      - .offset:         140
        .size:           2
        .value_kind:     hidden_group_size_x
      - .offset:         142
        .size:           2
        .value_kind:     hidden_group_size_y
      - .offset:         144
        .size:           2
        .value_kind:     hidden_group_size_z
      - .offset:         146
        .size:           2
        .value_kind:     hidden_remainder_x
      - .offset:         148
        .size:           2
        .value_kind:     hidden_remainder_y
      - .offset:         150
        .size:           2
        .value_kind:     hidden_remainder_z
      - .offset:         168
        .size:           8
        .value_kind:     hidden_global_offset_x
      - .offset:         176
        .size:           8
        .value_kind:     hidden_global_offset_y
      - .offset:         184
        .size:           8
        .value_kind:     hidden_global_offset_z
      - .offset:         192
        .size:           2
        .value_kind:     hidden_grid_dims
      - .offset:         208
        .size:           8
        .value_kind:     hidden_hostcall_buffer
    .group_segment_fixed_size: 0
    .kernarg_segment_align: 8
    .kernarg_segment_size: 384
    .language:       OpenCL C
    .language_version:
      - 2
      - 0
    .max_flat_workgroup_size: 192
    .name:           _ZL13mul_mat_f_idsIfLi32ELi3ELi3EEvPKT_PKfPKiS6_S6_Pfiiiiiiiiiiiiii15HIP_vector_typeIjLj3EES9_
    .private_segment_fixed_size: 16
    .sgpr_count:     38
    .sgpr_spill_count: 0
    .symbol:         _ZL13mul_mat_f_idsIfLi32ELi3ELi3EEvPKT_PKfPKiS6_S6_Pfiiiiiiiiiiiiii15HIP_vector_typeIjLj3EES9_.kd
    .uniform_work_group_size: 1
    .uses_dynamic_stack: false
    .vgpr_count:     38
    .vgpr_spill_count: 0
    .wavefront_size: 64
  - .args:
      - .actual_access:  read_only
        .address_space:  global
        .offset:         0
        .size:           8
        .value_kind:     global_buffer
      - .actual_access:  read_only
        .address_space:  global
        .offset:         8
        .size:           8
        .value_kind:     global_buffer
      - .actual_access:  read_only
        .address_space:  global
        .offset:         16
        .size:           8
        .value_kind:     global_buffer
      - .actual_access:  read_only
        .address_space:  global
        .offset:         24
        .size:           8
        .value_kind:     global_buffer
      - .offset:         32
        .size:           4
        .value_kind:     by_value
      - .offset:         36
        .size:           4
        .value_kind:     by_value
      - .offset:         40
        .size:           4
        .value_kind:     by_value
      - .offset:         44
        .size:           4
        .value_kind:     by_value
      - .offset:         48
        .size:           4
        .value_kind:     by_value
      - .offset:         52
        .size:           4
        .value_kind:     by_value
      - .offset:         56
        .size:           4
        .value_kind:     by_value
      - .offset:         60
        .size:           4
        .value_kind:     by_value
      - .offset:         64
        .size:           4
        .value_kind:     by_value
      - .offset:         68
        .size:           4
        .value_kind:     by_value
      - .offset:         72
        .size:           4
        .value_kind:     by_value
      - .offset:         76
        .size:           4
        .value_kind:     by_value
      - .offset:         80
        .size:           4
        .value_kind:     by_value
      - .offset:         84
        .size:           4
        .value_kind:     by_value
      - .offset:         88
        .size:           4
        .value_kind:     by_value
      - .offset:         92
        .size:           4
        .value_kind:     by_value
      - .offset:         96
        .size:           4
        .value_kind:     hidden_block_count_x
      - .offset:         100
        .size:           4
        .value_kind:     hidden_block_count_y
      - .offset:         104
        .size:           4
        .value_kind:     hidden_block_count_z
      - .offset:         108
        .size:           2
        .value_kind:     hidden_group_size_x
      - .offset:         110
        .size:           2
        .value_kind:     hidden_group_size_y
      - .offset:         112
        .size:           2
        .value_kind:     hidden_group_size_z
      - .offset:         114
        .size:           2
        .value_kind:     hidden_remainder_x
      - .offset:         116
        .size:           2
        .value_kind:     hidden_remainder_y
      - .offset:         118
        .size:           2
        .value_kind:     hidden_remainder_z
      - .offset:         136
        .size:           8
        .value_kind:     hidden_global_offset_x
      - .offset:         144
        .size:           8
        .value_kind:     hidden_global_offset_y
      - .offset:         152
        .size:           8
        .value_kind:     hidden_global_offset_z
      - .offset:         160
        .size:           2
        .value_kind:     hidden_grid_dims
      - .offset:         176
        .size:           8
        .value_kind:     hidden_hostcall_buffer
    .group_segment_fixed_size: 0
    .kernarg_segment_align: 8
    .kernarg_segment_size: 352
    .language:       OpenCL C
    .language_version:
      - 2
      - 0
    .max_flat_workgroup_size: 192
    .name:           _ZL9mul_mat_fIfLi32ELi3ELi3ELb1EEvPKT_PKfPKiPfiiiiiiiiiiiiiiii
    .private_segment_fixed_size: 16
    .sgpr_count:     38
    .sgpr_spill_count: 0
    .symbol:         _ZL9mul_mat_fIfLi32ELi3ELi3ELb1EEvPKT_PKfPKiPfiiiiiiiiiiiiiiii.kd
    .uniform_work_group_size: 1
    .uses_dynamic_stack: false
    .vgpr_count:     38
    .vgpr_spill_count: 0
    .wavefront_size: 64
  - .args:
      - .actual_access:  read_only
        .address_space:  global
        .offset:         0
        .size:           8
        .value_kind:     global_buffer
      - .actual_access:  read_only
        .address_space:  global
        .offset:         8
        .size:           8
        .value_kind:     global_buffer
      - .actual_access:  read_only
        .address_space:  global
        .offset:         16
        .size:           8
        .value_kind:     global_buffer
      - .actual_access:  read_only
        .address_space:  global
        .offset:         24
        .size:           8
        .value_kind:     global_buffer
      - .offset:         32
        .size:           4
        .value_kind:     by_value
      - .offset:         36
        .size:           4
        .value_kind:     by_value
      - .offset:         40
        .size:           4
        .value_kind:     by_value
      - .offset:         44
        .size:           4
        .value_kind:     by_value
      - .offset:         48
        .size:           4
        .value_kind:     by_value
      - .offset:         52
        .size:           4
        .value_kind:     by_value
      - .offset:         56
        .size:           4
        .value_kind:     by_value
      - .offset:         60
        .size:           4
        .value_kind:     by_value
      - .offset:         64
        .size:           4
        .value_kind:     by_value
      - .offset:         68
        .size:           4
        .value_kind:     by_value
      - .offset:         72
        .size:           4
        .value_kind:     by_value
      - .offset:         76
        .size:           4
        .value_kind:     by_value
      - .offset:         80
        .size:           4
        .value_kind:     by_value
      - .offset:         84
        .size:           4
        .value_kind:     by_value
      - .offset:         88
        .size:           4
        .value_kind:     by_value
      - .offset:         92
        .size:           4
        .value_kind:     by_value
      - .offset:         96
        .size:           4
        .value_kind:     hidden_block_count_x
      - .offset:         100
        .size:           4
        .value_kind:     hidden_block_count_y
      - .offset:         104
        .size:           4
        .value_kind:     hidden_block_count_z
      - .offset:         108
        .size:           2
        .value_kind:     hidden_group_size_x
      - .offset:         110
        .size:           2
        .value_kind:     hidden_group_size_y
      - .offset:         112
        .size:           2
        .value_kind:     hidden_group_size_z
      - .offset:         114
        .size:           2
        .value_kind:     hidden_remainder_x
      - .offset:         116
        .size:           2
        .value_kind:     hidden_remainder_y
      - .offset:         118
        .size:           2
        .value_kind:     hidden_remainder_z
      - .offset:         136
        .size:           8
        .value_kind:     hidden_global_offset_x
      - .offset:         144
        .size:           8
        .value_kind:     hidden_global_offset_y
      - .offset:         152
        .size:           8
        .value_kind:     hidden_global_offset_z
      - .offset:         160
        .size:           2
        .value_kind:     hidden_grid_dims
      - .offset:         176
        .size:           8
        .value_kind:     hidden_hostcall_buffer
    .group_segment_fixed_size: 0
    .kernarg_segment_align: 8
    .kernarg_segment_size: 352
    .language:       OpenCL C
    .language_version:
      - 2
      - 0
    .max_flat_workgroup_size: 192
    .name:           _ZL9mul_mat_fIfLi32ELi3ELi3ELb0EEvPKT_PKfPKiPfiiiiiiiiiiiiiiii
    .private_segment_fixed_size: 16
    .sgpr_count:     38
    .sgpr_spill_count: 0
    .symbol:         _ZL9mul_mat_fIfLi32ELi3ELi3ELb0EEvPKT_PKfPKiPfiiiiiiiiiiiiiiii.kd
    .uniform_work_group_size: 1
    .uses_dynamic_stack: false
    .vgpr_count:     38
    .vgpr_spill_count: 0
    .wavefront_size: 64
  - .args:
      - .actual_access:  read_only
        .address_space:  global
        .offset:         0
        .size:           8
        .value_kind:     global_buffer
      - .actual_access:  read_only
        .address_space:  global
        .offset:         8
        .size:           8
        .value_kind:     global_buffer
      - .actual_access:  read_only
        .address_space:  global
        .offset:         16
        .size:           8
        .value_kind:     global_buffer
      - .actual_access:  read_only
        .address_space:  global
        .offset:         24
        .size:           8
        .value_kind:     global_buffer
      - .actual_access:  read_only
        .address_space:  global
        .offset:         32
        .size:           8
        .value_kind:     global_buffer
      - .actual_access:  read_only
        .address_space:  global
        .offset:         40
        .size:           8
        .value_kind:     global_buffer
      - .offset:         48
        .size:           4
        .value_kind:     by_value
      - .offset:         52
        .size:           4
        .value_kind:     by_value
      - .offset:         56
        .size:           4
        .value_kind:     by_value
      - .offset:         60
        .size:           4
        .value_kind:     by_value
      - .offset:         64
        .size:           4
        .value_kind:     by_value
      - .offset:         68
        .size:           4
        .value_kind:     by_value
      - .offset:         72
        .size:           4
        .value_kind:     by_value
      - .offset:         76
        .size:           4
        .value_kind:     by_value
      - .offset:         80
        .size:           4
        .value_kind:     by_value
      - .offset:         84
        .size:           4
        .value_kind:     by_value
      - .offset:         88
        .size:           4
        .value_kind:     by_value
      - .offset:         92
        .size:           4
        .value_kind:     by_value
      - .offset:         96
        .size:           4
        .value_kind:     by_value
      - .offset:         100
        .size:           4
        .value_kind:     by_value
      - .offset:         104
        .size:           12
        .value_kind:     by_value
      - .offset:         116
        .size:           12
        .value_kind:     by_value
      - .offset:         128
        .size:           4
        .value_kind:     hidden_block_count_x
      - .offset:         132
        .size:           4
        .value_kind:     hidden_block_count_y
      - .offset:         136
        .size:           4
        .value_kind:     hidden_block_count_z
      - .offset:         140
        .size:           2
        .value_kind:     hidden_group_size_x
      - .offset:         142
        .size:           2
        .value_kind:     hidden_group_size_y
      - .offset:         144
        .size:           2
        .value_kind:     hidden_group_size_z
      - .offset:         146
        .size:           2
        .value_kind:     hidden_remainder_x
      - .offset:         148
        .size:           2
        .value_kind:     hidden_remainder_y
      - .offset:         150
        .size:           2
        .value_kind:     hidden_remainder_z
      - .offset:         168
        .size:           8
        .value_kind:     hidden_global_offset_x
      - .offset:         176
        .size:           8
        .value_kind:     hidden_global_offset_y
      - .offset:         184
        .size:           8
        .value_kind:     hidden_global_offset_z
      - .offset:         192
        .size:           2
        .value_kind:     hidden_grid_dims
      - .offset:         208
        .size:           8
        .value_kind:     hidden_hostcall_buffer
    .group_segment_fixed_size: 0
    .kernarg_segment_align: 8
    .kernarg_segment_size: 384
    .language:       OpenCL C
    .language_version:
      - 2
      - 0
    .max_flat_workgroup_size: 256
    .name:           _ZL13mul_mat_f_idsIfLi32ELi3ELi4EEvPKT_PKfPKiS6_S6_Pfiiiiiiiiiiiiii15HIP_vector_typeIjLj3EES9_
    .private_segment_fixed_size: 16
    .sgpr_count:     38
    .sgpr_spill_count: 0
    .symbol:         _ZL13mul_mat_f_idsIfLi32ELi3ELi4EEvPKT_PKfPKiS6_S6_Pfiiiiiiiiiiiiii15HIP_vector_typeIjLj3EES9_.kd
    .uniform_work_group_size: 1
    .uses_dynamic_stack: false
    .vgpr_count:     38
    .vgpr_spill_count: 0
    .wavefront_size: 64
  - .args:
      - .actual_access:  read_only
        .address_space:  global
        .offset:         0
        .size:           8
        .value_kind:     global_buffer
      - .actual_access:  read_only
        .address_space:  global
        .offset:         8
        .size:           8
        .value_kind:     global_buffer
      - .actual_access:  read_only
        .address_space:  global
        .offset:         16
        .size:           8
        .value_kind:     global_buffer
      - .actual_access:  read_only
        .address_space:  global
        .offset:         24
        .size:           8
        .value_kind:     global_buffer
      - .offset:         32
        .size:           4
        .value_kind:     by_value
      - .offset:         36
        .size:           4
        .value_kind:     by_value
      - .offset:         40
        .size:           4
        .value_kind:     by_value
      - .offset:         44
        .size:           4
        .value_kind:     by_value
      - .offset:         48
        .size:           4
        .value_kind:     by_value
      - .offset:         52
        .size:           4
        .value_kind:     by_value
      - .offset:         56
        .size:           4
        .value_kind:     by_value
      - .offset:         60
        .size:           4
        .value_kind:     by_value
      - .offset:         64
        .size:           4
        .value_kind:     by_value
      - .offset:         68
        .size:           4
        .value_kind:     by_value
      - .offset:         72
        .size:           4
        .value_kind:     by_value
      - .offset:         76
        .size:           4
        .value_kind:     by_value
      - .offset:         80
        .size:           4
        .value_kind:     by_value
      - .offset:         84
        .size:           4
        .value_kind:     by_value
      - .offset:         88
        .size:           4
        .value_kind:     by_value
      - .offset:         92
        .size:           4
        .value_kind:     by_value
      - .offset:         96
        .size:           4
        .value_kind:     hidden_block_count_x
      - .offset:         100
        .size:           4
        .value_kind:     hidden_block_count_y
      - .offset:         104
        .size:           4
        .value_kind:     hidden_block_count_z
      - .offset:         108
        .size:           2
        .value_kind:     hidden_group_size_x
      - .offset:         110
        .size:           2
        .value_kind:     hidden_group_size_y
      - .offset:         112
        .size:           2
        .value_kind:     hidden_group_size_z
      - .offset:         114
        .size:           2
        .value_kind:     hidden_remainder_x
      - .offset:         116
        .size:           2
        .value_kind:     hidden_remainder_y
      - .offset:         118
        .size:           2
        .value_kind:     hidden_remainder_z
      - .offset:         136
        .size:           8
        .value_kind:     hidden_global_offset_x
      - .offset:         144
        .size:           8
        .value_kind:     hidden_global_offset_y
      - .offset:         152
        .size:           8
        .value_kind:     hidden_global_offset_z
      - .offset:         160
        .size:           2
        .value_kind:     hidden_grid_dims
      - .offset:         176
        .size:           8
        .value_kind:     hidden_hostcall_buffer
    .group_segment_fixed_size: 0
    .kernarg_segment_align: 8
    .kernarg_segment_size: 352
    .language:       OpenCL C
    .language_version:
      - 2
      - 0
    .max_flat_workgroup_size: 256
    .name:           _ZL9mul_mat_fIfLi32ELi3ELi4ELb1EEvPKT_PKfPKiPfiiiiiiiiiiiiiiii
    .private_segment_fixed_size: 16
    .sgpr_count:     38
    .sgpr_spill_count: 0
    .symbol:         _ZL9mul_mat_fIfLi32ELi3ELi4ELb1EEvPKT_PKfPKiPfiiiiiiiiiiiiiiii.kd
    .uniform_work_group_size: 1
    .uses_dynamic_stack: false
    .vgpr_count:     38
    .vgpr_spill_count: 0
    .wavefront_size: 64
  - .args:
      - .actual_access:  read_only
        .address_space:  global
        .offset:         0
        .size:           8
        .value_kind:     global_buffer
      - .actual_access:  read_only
        .address_space:  global
        .offset:         8
        .size:           8
        .value_kind:     global_buffer
      - .actual_access:  read_only
        .address_space:  global
        .offset:         16
        .size:           8
        .value_kind:     global_buffer
      - .actual_access:  read_only
        .address_space:  global
        .offset:         24
        .size:           8
        .value_kind:     global_buffer
      - .offset:         32
        .size:           4
        .value_kind:     by_value
      - .offset:         36
        .size:           4
        .value_kind:     by_value
      - .offset:         40
        .size:           4
        .value_kind:     by_value
      - .offset:         44
        .size:           4
        .value_kind:     by_value
      - .offset:         48
        .size:           4
        .value_kind:     by_value
      - .offset:         52
        .size:           4
        .value_kind:     by_value
      - .offset:         56
        .size:           4
        .value_kind:     by_value
      - .offset:         60
        .size:           4
        .value_kind:     by_value
      - .offset:         64
        .size:           4
        .value_kind:     by_value
      - .offset:         68
        .size:           4
        .value_kind:     by_value
      - .offset:         72
        .size:           4
        .value_kind:     by_value
      - .offset:         76
        .size:           4
        .value_kind:     by_value
      - .offset:         80
        .size:           4
        .value_kind:     by_value
      - .offset:         84
        .size:           4
        .value_kind:     by_value
      - .offset:         88
        .size:           4
        .value_kind:     by_value
      - .offset:         92
        .size:           4
        .value_kind:     by_value
      - .offset:         96
        .size:           4
        .value_kind:     hidden_block_count_x
      - .offset:         100
        .size:           4
        .value_kind:     hidden_block_count_y
      - .offset:         104
        .size:           4
        .value_kind:     hidden_block_count_z
      - .offset:         108
        .size:           2
        .value_kind:     hidden_group_size_x
      - .offset:         110
        .size:           2
        .value_kind:     hidden_group_size_y
      - .offset:         112
        .size:           2
        .value_kind:     hidden_group_size_z
      - .offset:         114
        .size:           2
        .value_kind:     hidden_remainder_x
      - .offset:         116
        .size:           2
        .value_kind:     hidden_remainder_y
      - .offset:         118
        .size:           2
        .value_kind:     hidden_remainder_z
      - .offset:         136
        .size:           8
        .value_kind:     hidden_global_offset_x
      - .offset:         144
        .size:           8
        .value_kind:     hidden_global_offset_y
      - .offset:         152
        .size:           8
        .value_kind:     hidden_global_offset_z
      - .offset:         160
        .size:           2
        .value_kind:     hidden_grid_dims
      - .offset:         176
        .size:           8
        .value_kind:     hidden_hostcall_buffer
    .group_segment_fixed_size: 0
    .kernarg_segment_align: 8
    .kernarg_segment_size: 352
    .language:       OpenCL C
    .language_version:
      - 2
      - 0
    .max_flat_workgroup_size: 256
    .name:           _ZL9mul_mat_fIfLi32ELi3ELi4ELb0EEvPKT_PKfPKiPfiiiiiiiiiiiiiiii
    .private_segment_fixed_size: 16
    .sgpr_count:     38
    .sgpr_spill_count: 0
    .symbol:         _ZL9mul_mat_fIfLi32ELi3ELi4ELb0EEvPKT_PKfPKiPfiiiiiiiiiiiiiiii.kd
    .uniform_work_group_size: 1
    .uses_dynamic_stack: false
    .vgpr_count:     38
    .vgpr_spill_count: 0
    .wavefront_size: 64
  - .args:
      - .actual_access:  read_only
        .address_space:  global
        .offset:         0
        .size:           8
        .value_kind:     global_buffer
      - .actual_access:  read_only
        .address_space:  global
        .offset:         8
        .size:           8
        .value_kind:     global_buffer
      - .actual_access:  read_only
        .address_space:  global
        .offset:         16
        .size:           8
        .value_kind:     global_buffer
      - .actual_access:  read_only
        .address_space:  global
        .offset:         24
        .size:           8
        .value_kind:     global_buffer
      - .actual_access:  read_only
        .address_space:  global
        .offset:         32
        .size:           8
        .value_kind:     global_buffer
      - .actual_access:  read_only
        .address_space:  global
        .offset:         40
        .size:           8
        .value_kind:     global_buffer
      - .offset:         48
        .size:           4
        .value_kind:     by_value
      - .offset:         52
        .size:           4
        .value_kind:     by_value
      - .offset:         56
        .size:           4
        .value_kind:     by_value
      - .offset:         60
        .size:           4
        .value_kind:     by_value
      - .offset:         64
        .size:           4
        .value_kind:     by_value
      - .offset:         68
        .size:           4
        .value_kind:     by_value
      - .offset:         72
        .size:           4
        .value_kind:     by_value
      - .offset:         76
        .size:           4
        .value_kind:     by_value
      - .offset:         80
        .size:           4
        .value_kind:     by_value
      - .offset:         84
        .size:           4
        .value_kind:     by_value
      - .offset:         88
        .size:           4
        .value_kind:     by_value
      - .offset:         92
        .size:           4
        .value_kind:     by_value
      - .offset:         96
        .size:           4
        .value_kind:     by_value
      - .offset:         100
        .size:           4
        .value_kind:     by_value
      - .offset:         104
        .size:           12
        .value_kind:     by_value
      - .offset:         116
        .size:           12
        .value_kind:     by_value
      - .offset:         128
        .size:           4
        .value_kind:     hidden_block_count_x
      - .offset:         132
        .size:           4
        .value_kind:     hidden_block_count_y
      - .offset:         136
        .size:           4
        .value_kind:     hidden_block_count_z
      - .offset:         140
        .size:           2
        .value_kind:     hidden_group_size_x
      - .offset:         142
        .size:           2
        .value_kind:     hidden_group_size_y
      - .offset:         144
        .size:           2
        .value_kind:     hidden_group_size_z
      - .offset:         146
        .size:           2
        .value_kind:     hidden_remainder_x
      - .offset:         148
        .size:           2
        .value_kind:     hidden_remainder_y
      - .offset:         150
        .size:           2
        .value_kind:     hidden_remainder_z
      - .offset:         168
        .size:           8
        .value_kind:     hidden_global_offset_x
      - .offset:         176
        .size:           8
        .value_kind:     hidden_global_offset_y
      - .offset:         184
        .size:           8
        .value_kind:     hidden_global_offset_z
      - .offset:         192
        .size:           2
        .value_kind:     hidden_grid_dims
      - .offset:         208
        .size:           8
        .value_kind:     hidden_hostcall_buffer
    .group_segment_fixed_size: 0
    .kernarg_segment_align: 8
    .kernarg_segment_size: 384
    .language:       OpenCL C
    .language_version:
      - 2
      - 0
    .max_flat_workgroup_size: 320
    .name:           _ZL13mul_mat_f_idsIfLi32ELi3ELi5EEvPKT_PKfPKiS6_S6_Pfiiiiiiiiiiiiii15HIP_vector_typeIjLj3EES9_
    .private_segment_fixed_size: 16
    .sgpr_count:     38
    .sgpr_spill_count: 0
    .symbol:         _ZL13mul_mat_f_idsIfLi32ELi3ELi5EEvPKT_PKfPKiS6_S6_Pfiiiiiiiiiiiiii15HIP_vector_typeIjLj3EES9_.kd
    .uniform_work_group_size: 1
    .uses_dynamic_stack: false
    .vgpr_count:     38
    .vgpr_spill_count: 0
    .wavefront_size: 64
  - .args:
      - .actual_access:  read_only
        .address_space:  global
        .offset:         0
        .size:           8
        .value_kind:     global_buffer
      - .actual_access:  read_only
        .address_space:  global
        .offset:         8
        .size:           8
        .value_kind:     global_buffer
      - .actual_access:  read_only
        .address_space:  global
        .offset:         16
        .size:           8
        .value_kind:     global_buffer
      - .actual_access:  read_only
        .address_space:  global
        .offset:         24
        .size:           8
        .value_kind:     global_buffer
      - .offset:         32
        .size:           4
        .value_kind:     by_value
      - .offset:         36
        .size:           4
        .value_kind:     by_value
      - .offset:         40
        .size:           4
        .value_kind:     by_value
      - .offset:         44
        .size:           4
        .value_kind:     by_value
      - .offset:         48
        .size:           4
        .value_kind:     by_value
      - .offset:         52
        .size:           4
        .value_kind:     by_value
      - .offset:         56
        .size:           4
        .value_kind:     by_value
      - .offset:         60
        .size:           4
        .value_kind:     by_value
      - .offset:         64
        .size:           4
        .value_kind:     by_value
      - .offset:         68
        .size:           4
        .value_kind:     by_value
      - .offset:         72
        .size:           4
        .value_kind:     by_value
      - .offset:         76
        .size:           4
        .value_kind:     by_value
      - .offset:         80
        .size:           4
        .value_kind:     by_value
      - .offset:         84
        .size:           4
        .value_kind:     by_value
      - .offset:         88
        .size:           4
        .value_kind:     by_value
      - .offset:         92
        .size:           4
        .value_kind:     by_value
      - .offset:         96
        .size:           4
        .value_kind:     hidden_block_count_x
      - .offset:         100
        .size:           4
        .value_kind:     hidden_block_count_y
      - .offset:         104
        .size:           4
        .value_kind:     hidden_block_count_z
      - .offset:         108
        .size:           2
        .value_kind:     hidden_group_size_x
      - .offset:         110
        .size:           2
        .value_kind:     hidden_group_size_y
      - .offset:         112
        .size:           2
        .value_kind:     hidden_group_size_z
      - .offset:         114
        .size:           2
        .value_kind:     hidden_remainder_x
      - .offset:         116
        .size:           2
        .value_kind:     hidden_remainder_y
      - .offset:         118
        .size:           2
        .value_kind:     hidden_remainder_z
      - .offset:         136
        .size:           8
        .value_kind:     hidden_global_offset_x
      - .offset:         144
        .size:           8
        .value_kind:     hidden_global_offset_y
      - .offset:         152
        .size:           8
        .value_kind:     hidden_global_offset_z
      - .offset:         160
        .size:           2
        .value_kind:     hidden_grid_dims
      - .offset:         176
        .size:           8
        .value_kind:     hidden_hostcall_buffer
    .group_segment_fixed_size: 0
    .kernarg_segment_align: 8
    .kernarg_segment_size: 352
    .language:       OpenCL C
    .language_version:
      - 2
      - 0
    .max_flat_workgroup_size: 320
    .name:           _ZL9mul_mat_fIfLi32ELi3ELi5ELb1EEvPKT_PKfPKiPfiiiiiiiiiiiiiiii
    .private_segment_fixed_size: 16
    .sgpr_count:     38
    .sgpr_spill_count: 0
    .symbol:         _ZL9mul_mat_fIfLi32ELi3ELi5ELb1EEvPKT_PKfPKiPfiiiiiiiiiiiiiiii.kd
    .uniform_work_group_size: 1
    .uses_dynamic_stack: false
    .vgpr_count:     38
    .vgpr_spill_count: 0
    .wavefront_size: 64
  - .args:
      - .actual_access:  read_only
        .address_space:  global
        .offset:         0
        .size:           8
        .value_kind:     global_buffer
      - .actual_access:  read_only
        .address_space:  global
        .offset:         8
        .size:           8
        .value_kind:     global_buffer
      - .actual_access:  read_only
        .address_space:  global
        .offset:         16
        .size:           8
        .value_kind:     global_buffer
      - .actual_access:  read_only
        .address_space:  global
        .offset:         24
        .size:           8
        .value_kind:     global_buffer
      - .offset:         32
        .size:           4
        .value_kind:     by_value
      - .offset:         36
        .size:           4
        .value_kind:     by_value
      - .offset:         40
        .size:           4
        .value_kind:     by_value
      - .offset:         44
        .size:           4
        .value_kind:     by_value
      - .offset:         48
        .size:           4
        .value_kind:     by_value
      - .offset:         52
        .size:           4
        .value_kind:     by_value
      - .offset:         56
        .size:           4
        .value_kind:     by_value
      - .offset:         60
        .size:           4
        .value_kind:     by_value
      - .offset:         64
        .size:           4
        .value_kind:     by_value
      - .offset:         68
        .size:           4
        .value_kind:     by_value
      - .offset:         72
        .size:           4
        .value_kind:     by_value
      - .offset:         76
        .size:           4
        .value_kind:     by_value
      - .offset:         80
        .size:           4
        .value_kind:     by_value
      - .offset:         84
        .size:           4
        .value_kind:     by_value
      - .offset:         88
        .size:           4
        .value_kind:     by_value
      - .offset:         92
        .size:           4
        .value_kind:     by_value
      - .offset:         96
        .size:           4
        .value_kind:     hidden_block_count_x
      - .offset:         100
        .size:           4
        .value_kind:     hidden_block_count_y
      - .offset:         104
        .size:           4
        .value_kind:     hidden_block_count_z
      - .offset:         108
        .size:           2
        .value_kind:     hidden_group_size_x
      - .offset:         110
        .size:           2
        .value_kind:     hidden_group_size_y
      - .offset:         112
        .size:           2
        .value_kind:     hidden_group_size_z
      - .offset:         114
        .size:           2
        .value_kind:     hidden_remainder_x
      - .offset:         116
        .size:           2
        .value_kind:     hidden_remainder_y
      - .offset:         118
        .size:           2
        .value_kind:     hidden_remainder_z
      - .offset:         136
        .size:           8
        .value_kind:     hidden_global_offset_x
      - .offset:         144
        .size:           8
        .value_kind:     hidden_global_offset_y
      - .offset:         152
        .size:           8
        .value_kind:     hidden_global_offset_z
      - .offset:         160
        .size:           2
        .value_kind:     hidden_grid_dims
      - .offset:         176
        .size:           8
        .value_kind:     hidden_hostcall_buffer
    .group_segment_fixed_size: 0
    .kernarg_segment_align: 8
    .kernarg_segment_size: 352
    .language:       OpenCL C
    .language_version:
      - 2
      - 0
    .max_flat_workgroup_size: 320
    .name:           _ZL9mul_mat_fIfLi32ELi3ELi5ELb0EEvPKT_PKfPKiPfiiiiiiiiiiiiiiii
    .private_segment_fixed_size: 16
    .sgpr_count:     38
    .sgpr_spill_count: 0
    .symbol:         _ZL9mul_mat_fIfLi32ELi3ELi5ELb0EEvPKT_PKfPKiPfiiiiiiiiiiiiiiii.kd
    .uniform_work_group_size: 1
    .uses_dynamic_stack: false
    .vgpr_count:     38
    .vgpr_spill_count: 0
    .wavefront_size: 64
  - .args:
      - .actual_access:  read_only
        .address_space:  global
        .offset:         0
        .size:           8
        .value_kind:     global_buffer
      - .actual_access:  read_only
        .address_space:  global
        .offset:         8
        .size:           8
        .value_kind:     global_buffer
      - .actual_access:  read_only
        .address_space:  global
        .offset:         16
        .size:           8
        .value_kind:     global_buffer
      - .actual_access:  read_only
        .address_space:  global
        .offset:         24
        .size:           8
        .value_kind:     global_buffer
      - .actual_access:  read_only
        .address_space:  global
        .offset:         32
        .size:           8
        .value_kind:     global_buffer
      - .actual_access:  read_only
        .address_space:  global
        .offset:         40
        .size:           8
        .value_kind:     global_buffer
      - .offset:         48
        .size:           4
        .value_kind:     by_value
      - .offset:         52
        .size:           4
        .value_kind:     by_value
      - .offset:         56
        .size:           4
        .value_kind:     by_value
      - .offset:         60
        .size:           4
        .value_kind:     by_value
      - .offset:         64
        .size:           4
        .value_kind:     by_value
      - .offset:         68
        .size:           4
        .value_kind:     by_value
      - .offset:         72
        .size:           4
        .value_kind:     by_value
      - .offset:         76
        .size:           4
        .value_kind:     by_value
      - .offset:         80
        .size:           4
        .value_kind:     by_value
      - .offset:         84
        .size:           4
        .value_kind:     by_value
      - .offset:         88
        .size:           4
        .value_kind:     by_value
      - .offset:         92
        .size:           4
        .value_kind:     by_value
      - .offset:         96
        .size:           4
        .value_kind:     by_value
      - .offset:         100
        .size:           4
        .value_kind:     by_value
      - .offset:         104
        .size:           12
        .value_kind:     by_value
      - .offset:         116
        .size:           12
        .value_kind:     by_value
      - .offset:         128
        .size:           4
        .value_kind:     hidden_block_count_x
      - .offset:         132
        .size:           4
        .value_kind:     hidden_block_count_y
      - .offset:         136
        .size:           4
        .value_kind:     hidden_block_count_z
      - .offset:         140
        .size:           2
        .value_kind:     hidden_group_size_x
      - .offset:         142
        .size:           2
        .value_kind:     hidden_group_size_y
      - .offset:         144
        .size:           2
        .value_kind:     hidden_group_size_z
      - .offset:         146
        .size:           2
        .value_kind:     hidden_remainder_x
      - .offset:         148
        .size:           2
        .value_kind:     hidden_remainder_y
      - .offset:         150
        .size:           2
        .value_kind:     hidden_remainder_z
      - .offset:         168
        .size:           8
        .value_kind:     hidden_global_offset_x
      - .offset:         176
        .size:           8
        .value_kind:     hidden_global_offset_y
      - .offset:         184
        .size:           8
        .value_kind:     hidden_global_offset_z
      - .offset:         192
        .size:           2
        .value_kind:     hidden_grid_dims
      - .offset:         208
        .size:           8
        .value_kind:     hidden_hostcall_buffer
    .group_segment_fixed_size: 0
    .kernarg_segment_align: 8
    .kernarg_segment_size: 384
    .language:       OpenCL C
    .language_version:
      - 2
      - 0
    .max_flat_workgroup_size: 384
    .name:           _ZL13mul_mat_f_idsIfLi32ELi3ELi6EEvPKT_PKfPKiS6_S6_Pfiiiiiiiiiiiiii15HIP_vector_typeIjLj3EES9_
    .private_segment_fixed_size: 16
    .sgpr_count:     38
    .sgpr_spill_count: 0
    .symbol:         _ZL13mul_mat_f_idsIfLi32ELi3ELi6EEvPKT_PKfPKiS6_S6_Pfiiiiiiiiiiiiii15HIP_vector_typeIjLj3EES9_.kd
    .uniform_work_group_size: 1
    .uses_dynamic_stack: false
    .vgpr_count:     38
    .vgpr_spill_count: 0
    .wavefront_size: 64
  - .args:
      - .actual_access:  read_only
        .address_space:  global
        .offset:         0
        .size:           8
        .value_kind:     global_buffer
      - .actual_access:  read_only
        .address_space:  global
        .offset:         8
        .size:           8
        .value_kind:     global_buffer
      - .actual_access:  read_only
        .address_space:  global
        .offset:         16
        .size:           8
        .value_kind:     global_buffer
      - .actual_access:  read_only
        .address_space:  global
        .offset:         24
        .size:           8
        .value_kind:     global_buffer
      - .offset:         32
        .size:           4
        .value_kind:     by_value
      - .offset:         36
        .size:           4
        .value_kind:     by_value
      - .offset:         40
        .size:           4
        .value_kind:     by_value
      - .offset:         44
        .size:           4
        .value_kind:     by_value
      - .offset:         48
        .size:           4
        .value_kind:     by_value
      - .offset:         52
        .size:           4
        .value_kind:     by_value
      - .offset:         56
        .size:           4
        .value_kind:     by_value
      - .offset:         60
        .size:           4
        .value_kind:     by_value
      - .offset:         64
        .size:           4
        .value_kind:     by_value
      - .offset:         68
        .size:           4
        .value_kind:     by_value
      - .offset:         72
        .size:           4
        .value_kind:     by_value
      - .offset:         76
        .size:           4
        .value_kind:     by_value
      - .offset:         80
        .size:           4
        .value_kind:     by_value
      - .offset:         84
        .size:           4
        .value_kind:     by_value
      - .offset:         88
        .size:           4
        .value_kind:     by_value
      - .offset:         92
        .size:           4
        .value_kind:     by_value
      - .offset:         96
        .size:           4
        .value_kind:     hidden_block_count_x
      - .offset:         100
        .size:           4
        .value_kind:     hidden_block_count_y
      - .offset:         104
        .size:           4
        .value_kind:     hidden_block_count_z
      - .offset:         108
        .size:           2
        .value_kind:     hidden_group_size_x
      - .offset:         110
        .size:           2
        .value_kind:     hidden_group_size_y
      - .offset:         112
        .size:           2
        .value_kind:     hidden_group_size_z
      - .offset:         114
        .size:           2
        .value_kind:     hidden_remainder_x
      - .offset:         116
        .size:           2
        .value_kind:     hidden_remainder_y
      - .offset:         118
        .size:           2
        .value_kind:     hidden_remainder_z
      - .offset:         136
        .size:           8
        .value_kind:     hidden_global_offset_x
      - .offset:         144
        .size:           8
        .value_kind:     hidden_global_offset_y
      - .offset:         152
        .size:           8
        .value_kind:     hidden_global_offset_z
      - .offset:         160
        .size:           2
        .value_kind:     hidden_grid_dims
      - .offset:         176
        .size:           8
        .value_kind:     hidden_hostcall_buffer
    .group_segment_fixed_size: 0
    .kernarg_segment_align: 8
    .kernarg_segment_size: 352
    .language:       OpenCL C
    .language_version:
      - 2
      - 0
    .max_flat_workgroup_size: 384
    .name:           _ZL9mul_mat_fIfLi32ELi3ELi6ELb1EEvPKT_PKfPKiPfiiiiiiiiiiiiiiii
    .private_segment_fixed_size: 16
    .sgpr_count:     38
    .sgpr_spill_count: 0
    .symbol:         _ZL9mul_mat_fIfLi32ELi3ELi6ELb1EEvPKT_PKfPKiPfiiiiiiiiiiiiiiii.kd
    .uniform_work_group_size: 1
    .uses_dynamic_stack: false
    .vgpr_count:     38
    .vgpr_spill_count: 0
    .wavefront_size: 64
  - .args:
      - .actual_access:  read_only
        .address_space:  global
        .offset:         0
        .size:           8
        .value_kind:     global_buffer
      - .actual_access:  read_only
        .address_space:  global
        .offset:         8
        .size:           8
        .value_kind:     global_buffer
      - .actual_access:  read_only
        .address_space:  global
        .offset:         16
        .size:           8
        .value_kind:     global_buffer
      - .actual_access:  read_only
        .address_space:  global
        .offset:         24
        .size:           8
        .value_kind:     global_buffer
      - .offset:         32
        .size:           4
        .value_kind:     by_value
      - .offset:         36
        .size:           4
        .value_kind:     by_value
      - .offset:         40
        .size:           4
        .value_kind:     by_value
      - .offset:         44
        .size:           4
        .value_kind:     by_value
      - .offset:         48
        .size:           4
        .value_kind:     by_value
      - .offset:         52
        .size:           4
        .value_kind:     by_value
      - .offset:         56
        .size:           4
        .value_kind:     by_value
      - .offset:         60
        .size:           4
        .value_kind:     by_value
      - .offset:         64
        .size:           4
        .value_kind:     by_value
      - .offset:         68
        .size:           4
        .value_kind:     by_value
      - .offset:         72
        .size:           4
        .value_kind:     by_value
      - .offset:         76
        .size:           4
        .value_kind:     by_value
      - .offset:         80
        .size:           4
        .value_kind:     by_value
      - .offset:         84
        .size:           4
        .value_kind:     by_value
      - .offset:         88
        .size:           4
        .value_kind:     by_value
      - .offset:         92
        .size:           4
        .value_kind:     by_value
      - .offset:         96
        .size:           4
        .value_kind:     hidden_block_count_x
      - .offset:         100
        .size:           4
        .value_kind:     hidden_block_count_y
      - .offset:         104
        .size:           4
        .value_kind:     hidden_block_count_z
      - .offset:         108
        .size:           2
        .value_kind:     hidden_group_size_x
      - .offset:         110
        .size:           2
        .value_kind:     hidden_group_size_y
      - .offset:         112
        .size:           2
        .value_kind:     hidden_group_size_z
      - .offset:         114
        .size:           2
        .value_kind:     hidden_remainder_x
      - .offset:         116
        .size:           2
        .value_kind:     hidden_remainder_y
      - .offset:         118
        .size:           2
        .value_kind:     hidden_remainder_z
      - .offset:         136
        .size:           8
        .value_kind:     hidden_global_offset_x
      - .offset:         144
        .size:           8
        .value_kind:     hidden_global_offset_y
      - .offset:         152
        .size:           8
        .value_kind:     hidden_global_offset_z
      - .offset:         160
        .size:           2
        .value_kind:     hidden_grid_dims
      - .offset:         176
        .size:           8
        .value_kind:     hidden_hostcall_buffer
    .group_segment_fixed_size: 0
    .kernarg_segment_align: 8
    .kernarg_segment_size: 352
    .language:       OpenCL C
    .language_version:
      - 2
      - 0
    .max_flat_workgroup_size: 384
    .name:           _ZL9mul_mat_fIfLi32ELi3ELi6ELb0EEvPKT_PKfPKiPfiiiiiiiiiiiiiiii
    .private_segment_fixed_size: 16
    .sgpr_count:     38
    .sgpr_spill_count: 0
    .symbol:         _ZL9mul_mat_fIfLi32ELi3ELi6ELb0EEvPKT_PKfPKiPfiiiiiiiiiiiiiiii.kd
    .uniform_work_group_size: 1
    .uses_dynamic_stack: false
    .vgpr_count:     38
    .vgpr_spill_count: 0
    .wavefront_size: 64
  - .args:
      - .actual_access:  read_only
        .address_space:  global
        .offset:         0
        .size:           8
        .value_kind:     global_buffer
      - .actual_access:  read_only
        .address_space:  global
        .offset:         8
        .size:           8
        .value_kind:     global_buffer
      - .actual_access:  read_only
        .address_space:  global
        .offset:         16
        .size:           8
        .value_kind:     global_buffer
      - .actual_access:  read_only
        .address_space:  global
        .offset:         24
        .size:           8
        .value_kind:     global_buffer
      - .actual_access:  read_only
        .address_space:  global
        .offset:         32
        .size:           8
        .value_kind:     global_buffer
      - .actual_access:  read_only
        .address_space:  global
        .offset:         40
        .size:           8
        .value_kind:     global_buffer
      - .offset:         48
        .size:           4
        .value_kind:     by_value
      - .offset:         52
        .size:           4
        .value_kind:     by_value
      - .offset:         56
        .size:           4
        .value_kind:     by_value
      - .offset:         60
        .size:           4
        .value_kind:     by_value
      - .offset:         64
        .size:           4
        .value_kind:     by_value
      - .offset:         68
        .size:           4
        .value_kind:     by_value
      - .offset:         72
        .size:           4
        .value_kind:     by_value
      - .offset:         76
        .size:           4
        .value_kind:     by_value
      - .offset:         80
        .size:           4
        .value_kind:     by_value
      - .offset:         84
        .size:           4
        .value_kind:     by_value
      - .offset:         88
        .size:           4
        .value_kind:     by_value
      - .offset:         92
        .size:           4
        .value_kind:     by_value
      - .offset:         96
        .size:           4
        .value_kind:     by_value
      - .offset:         100
        .size:           4
        .value_kind:     by_value
      - .offset:         104
        .size:           12
        .value_kind:     by_value
      - .offset:         116
        .size:           12
        .value_kind:     by_value
      - .offset:         128
        .size:           4
        .value_kind:     hidden_block_count_x
      - .offset:         132
        .size:           4
        .value_kind:     hidden_block_count_y
      - .offset:         136
        .size:           4
        .value_kind:     hidden_block_count_z
      - .offset:         140
        .size:           2
        .value_kind:     hidden_group_size_x
      - .offset:         142
        .size:           2
        .value_kind:     hidden_group_size_y
      - .offset:         144
        .size:           2
        .value_kind:     hidden_group_size_z
      - .offset:         146
        .size:           2
        .value_kind:     hidden_remainder_x
      - .offset:         148
        .size:           2
        .value_kind:     hidden_remainder_y
      - .offset:         150
        .size:           2
        .value_kind:     hidden_remainder_z
      - .offset:         168
        .size:           8
        .value_kind:     hidden_global_offset_x
      - .offset:         176
        .size:           8
        .value_kind:     hidden_global_offset_y
      - .offset:         184
        .size:           8
        .value_kind:     hidden_global_offset_z
      - .offset:         192
        .size:           2
        .value_kind:     hidden_grid_dims
      - .offset:         208
        .size:           8
        .value_kind:     hidden_hostcall_buffer
    .group_segment_fixed_size: 0
    .kernarg_segment_align: 8
    .kernarg_segment_size: 384
    .language:       OpenCL C
    .language_version:
      - 2
      - 0
    .max_flat_workgroup_size: 448
    .name:           _ZL13mul_mat_f_idsIfLi32ELi3ELi7EEvPKT_PKfPKiS6_S6_Pfiiiiiiiiiiiiii15HIP_vector_typeIjLj3EES9_
    .private_segment_fixed_size: 16
    .sgpr_count:     38
    .sgpr_spill_count: 0
    .symbol:         _ZL13mul_mat_f_idsIfLi32ELi3ELi7EEvPKT_PKfPKiS6_S6_Pfiiiiiiiiiiiiii15HIP_vector_typeIjLj3EES9_.kd
    .uniform_work_group_size: 1
    .uses_dynamic_stack: false
    .vgpr_count:     38
    .vgpr_spill_count: 0
    .wavefront_size: 64
  - .args:
      - .actual_access:  read_only
        .address_space:  global
        .offset:         0
        .size:           8
        .value_kind:     global_buffer
      - .actual_access:  read_only
        .address_space:  global
        .offset:         8
        .size:           8
        .value_kind:     global_buffer
      - .actual_access:  read_only
        .address_space:  global
        .offset:         16
        .size:           8
        .value_kind:     global_buffer
      - .actual_access:  read_only
        .address_space:  global
        .offset:         24
        .size:           8
        .value_kind:     global_buffer
      - .offset:         32
        .size:           4
        .value_kind:     by_value
      - .offset:         36
        .size:           4
        .value_kind:     by_value
      - .offset:         40
        .size:           4
        .value_kind:     by_value
      - .offset:         44
        .size:           4
        .value_kind:     by_value
      - .offset:         48
        .size:           4
        .value_kind:     by_value
      - .offset:         52
        .size:           4
        .value_kind:     by_value
      - .offset:         56
        .size:           4
        .value_kind:     by_value
      - .offset:         60
        .size:           4
        .value_kind:     by_value
      - .offset:         64
        .size:           4
        .value_kind:     by_value
      - .offset:         68
        .size:           4
        .value_kind:     by_value
      - .offset:         72
        .size:           4
        .value_kind:     by_value
      - .offset:         76
        .size:           4
        .value_kind:     by_value
      - .offset:         80
        .size:           4
        .value_kind:     by_value
      - .offset:         84
        .size:           4
        .value_kind:     by_value
      - .offset:         88
        .size:           4
        .value_kind:     by_value
      - .offset:         92
        .size:           4
        .value_kind:     by_value
      - .offset:         96
        .size:           4
        .value_kind:     hidden_block_count_x
      - .offset:         100
        .size:           4
        .value_kind:     hidden_block_count_y
      - .offset:         104
        .size:           4
        .value_kind:     hidden_block_count_z
      - .offset:         108
        .size:           2
        .value_kind:     hidden_group_size_x
      - .offset:         110
        .size:           2
        .value_kind:     hidden_group_size_y
      - .offset:         112
        .size:           2
        .value_kind:     hidden_group_size_z
      - .offset:         114
        .size:           2
        .value_kind:     hidden_remainder_x
      - .offset:         116
        .size:           2
        .value_kind:     hidden_remainder_y
      - .offset:         118
        .size:           2
        .value_kind:     hidden_remainder_z
      - .offset:         136
        .size:           8
        .value_kind:     hidden_global_offset_x
      - .offset:         144
        .size:           8
        .value_kind:     hidden_global_offset_y
      - .offset:         152
        .size:           8
        .value_kind:     hidden_global_offset_z
      - .offset:         160
        .size:           2
        .value_kind:     hidden_grid_dims
      - .offset:         176
        .size:           8
        .value_kind:     hidden_hostcall_buffer
    .group_segment_fixed_size: 0
    .kernarg_segment_align: 8
    .kernarg_segment_size: 352
    .language:       OpenCL C
    .language_version:
      - 2
      - 0
    .max_flat_workgroup_size: 448
    .name:           _ZL9mul_mat_fIfLi32ELi3ELi7ELb1EEvPKT_PKfPKiPfiiiiiiiiiiiiiiii
    .private_segment_fixed_size: 16
    .sgpr_count:     38
    .sgpr_spill_count: 0
    .symbol:         _ZL9mul_mat_fIfLi32ELi3ELi7ELb1EEvPKT_PKfPKiPfiiiiiiiiiiiiiiii.kd
    .uniform_work_group_size: 1
    .uses_dynamic_stack: false
    .vgpr_count:     38
    .vgpr_spill_count: 0
    .wavefront_size: 64
  - .args:
      - .actual_access:  read_only
        .address_space:  global
        .offset:         0
        .size:           8
        .value_kind:     global_buffer
      - .actual_access:  read_only
        .address_space:  global
        .offset:         8
        .size:           8
        .value_kind:     global_buffer
      - .actual_access:  read_only
        .address_space:  global
        .offset:         16
        .size:           8
        .value_kind:     global_buffer
      - .actual_access:  read_only
        .address_space:  global
        .offset:         24
        .size:           8
        .value_kind:     global_buffer
      - .offset:         32
        .size:           4
        .value_kind:     by_value
      - .offset:         36
        .size:           4
        .value_kind:     by_value
      - .offset:         40
        .size:           4
        .value_kind:     by_value
      - .offset:         44
        .size:           4
        .value_kind:     by_value
      - .offset:         48
        .size:           4
        .value_kind:     by_value
      - .offset:         52
        .size:           4
        .value_kind:     by_value
      - .offset:         56
        .size:           4
        .value_kind:     by_value
      - .offset:         60
        .size:           4
        .value_kind:     by_value
      - .offset:         64
        .size:           4
        .value_kind:     by_value
      - .offset:         68
        .size:           4
        .value_kind:     by_value
      - .offset:         72
        .size:           4
        .value_kind:     by_value
      - .offset:         76
        .size:           4
        .value_kind:     by_value
      - .offset:         80
        .size:           4
        .value_kind:     by_value
      - .offset:         84
        .size:           4
        .value_kind:     by_value
      - .offset:         88
        .size:           4
        .value_kind:     by_value
      - .offset:         92
        .size:           4
        .value_kind:     by_value
      - .offset:         96
        .size:           4
        .value_kind:     hidden_block_count_x
      - .offset:         100
        .size:           4
        .value_kind:     hidden_block_count_y
      - .offset:         104
        .size:           4
        .value_kind:     hidden_block_count_z
      - .offset:         108
        .size:           2
        .value_kind:     hidden_group_size_x
      - .offset:         110
        .size:           2
        .value_kind:     hidden_group_size_y
      - .offset:         112
        .size:           2
        .value_kind:     hidden_group_size_z
      - .offset:         114
        .size:           2
        .value_kind:     hidden_remainder_x
      - .offset:         116
        .size:           2
        .value_kind:     hidden_remainder_y
      - .offset:         118
        .size:           2
        .value_kind:     hidden_remainder_z
      - .offset:         136
        .size:           8
        .value_kind:     hidden_global_offset_x
      - .offset:         144
        .size:           8
        .value_kind:     hidden_global_offset_y
      - .offset:         152
        .size:           8
        .value_kind:     hidden_global_offset_z
      - .offset:         160
        .size:           2
        .value_kind:     hidden_grid_dims
      - .offset:         176
        .size:           8
        .value_kind:     hidden_hostcall_buffer
    .group_segment_fixed_size: 0
    .kernarg_segment_align: 8
    .kernarg_segment_size: 352
    .language:       OpenCL C
    .language_version:
      - 2
      - 0
    .max_flat_workgroup_size: 448
    .name:           _ZL9mul_mat_fIfLi32ELi3ELi7ELb0EEvPKT_PKfPKiPfiiiiiiiiiiiiiiii
    .private_segment_fixed_size: 16
    .sgpr_count:     38
    .sgpr_spill_count: 0
    .symbol:         _ZL9mul_mat_fIfLi32ELi3ELi7ELb0EEvPKT_PKfPKiPfiiiiiiiiiiiiiiii.kd
    .uniform_work_group_size: 1
    .uses_dynamic_stack: false
    .vgpr_count:     38
    .vgpr_spill_count: 0
    .wavefront_size: 64
  - .args:
      - .actual_access:  read_only
        .address_space:  global
        .offset:         0
        .size:           8
        .value_kind:     global_buffer
      - .actual_access:  read_only
        .address_space:  global
        .offset:         8
        .size:           8
        .value_kind:     global_buffer
      - .actual_access:  read_only
        .address_space:  global
        .offset:         16
        .size:           8
        .value_kind:     global_buffer
      - .actual_access:  read_only
        .address_space:  global
        .offset:         24
        .size:           8
        .value_kind:     global_buffer
      - .actual_access:  read_only
        .address_space:  global
        .offset:         32
        .size:           8
        .value_kind:     global_buffer
      - .actual_access:  read_only
        .address_space:  global
        .offset:         40
        .size:           8
        .value_kind:     global_buffer
      - .offset:         48
        .size:           4
        .value_kind:     by_value
      - .offset:         52
        .size:           4
        .value_kind:     by_value
      - .offset:         56
        .size:           4
        .value_kind:     by_value
      - .offset:         60
        .size:           4
        .value_kind:     by_value
      - .offset:         64
        .size:           4
        .value_kind:     by_value
      - .offset:         68
        .size:           4
        .value_kind:     by_value
      - .offset:         72
        .size:           4
        .value_kind:     by_value
      - .offset:         76
        .size:           4
        .value_kind:     by_value
      - .offset:         80
        .size:           4
        .value_kind:     by_value
      - .offset:         84
        .size:           4
        .value_kind:     by_value
      - .offset:         88
        .size:           4
        .value_kind:     by_value
      - .offset:         92
        .size:           4
        .value_kind:     by_value
      - .offset:         96
        .size:           4
        .value_kind:     by_value
      - .offset:         100
        .size:           4
        .value_kind:     by_value
      - .offset:         104
        .size:           12
        .value_kind:     by_value
      - .offset:         116
        .size:           12
        .value_kind:     by_value
      - .offset:         128
        .size:           4
        .value_kind:     hidden_block_count_x
      - .offset:         132
        .size:           4
        .value_kind:     hidden_block_count_y
      - .offset:         136
        .size:           4
        .value_kind:     hidden_block_count_z
      - .offset:         140
        .size:           2
        .value_kind:     hidden_group_size_x
      - .offset:         142
        .size:           2
        .value_kind:     hidden_group_size_y
      - .offset:         144
        .size:           2
        .value_kind:     hidden_group_size_z
      - .offset:         146
        .size:           2
        .value_kind:     hidden_remainder_x
      - .offset:         148
        .size:           2
        .value_kind:     hidden_remainder_y
      - .offset:         150
        .size:           2
        .value_kind:     hidden_remainder_z
      - .offset:         168
        .size:           8
        .value_kind:     hidden_global_offset_x
      - .offset:         176
        .size:           8
        .value_kind:     hidden_global_offset_y
      - .offset:         184
        .size:           8
        .value_kind:     hidden_global_offset_z
      - .offset:         192
        .size:           2
        .value_kind:     hidden_grid_dims
      - .offset:         208
        .size:           8
        .value_kind:     hidden_hostcall_buffer
    .group_segment_fixed_size: 0
    .kernarg_segment_align: 8
    .kernarg_segment_size: 384
    .language:       OpenCL C
    .language_version:
      - 2
      - 0
    .max_flat_workgroup_size: 512
    .name:           _ZL13mul_mat_f_idsIfLi32ELi3ELi8EEvPKT_PKfPKiS6_S6_Pfiiiiiiiiiiiiii15HIP_vector_typeIjLj3EES9_
    .private_segment_fixed_size: 16
    .sgpr_count:     38
    .sgpr_spill_count: 0
    .symbol:         _ZL13mul_mat_f_idsIfLi32ELi3ELi8EEvPKT_PKfPKiS6_S6_Pfiiiiiiiiiiiiii15HIP_vector_typeIjLj3EES9_.kd
    .uniform_work_group_size: 1
    .uses_dynamic_stack: false
    .vgpr_count:     38
    .vgpr_spill_count: 0
    .wavefront_size: 64
  - .args:
      - .actual_access:  read_only
        .address_space:  global
        .offset:         0
        .size:           8
        .value_kind:     global_buffer
      - .actual_access:  read_only
        .address_space:  global
        .offset:         8
        .size:           8
        .value_kind:     global_buffer
      - .actual_access:  read_only
        .address_space:  global
        .offset:         16
        .size:           8
        .value_kind:     global_buffer
      - .actual_access:  read_only
        .address_space:  global
        .offset:         24
        .size:           8
        .value_kind:     global_buffer
      - .offset:         32
        .size:           4
        .value_kind:     by_value
      - .offset:         36
        .size:           4
        .value_kind:     by_value
      - .offset:         40
        .size:           4
        .value_kind:     by_value
      - .offset:         44
        .size:           4
        .value_kind:     by_value
      - .offset:         48
        .size:           4
        .value_kind:     by_value
      - .offset:         52
        .size:           4
        .value_kind:     by_value
      - .offset:         56
        .size:           4
        .value_kind:     by_value
      - .offset:         60
        .size:           4
        .value_kind:     by_value
      - .offset:         64
        .size:           4
        .value_kind:     by_value
      - .offset:         68
        .size:           4
        .value_kind:     by_value
      - .offset:         72
        .size:           4
        .value_kind:     by_value
      - .offset:         76
        .size:           4
        .value_kind:     by_value
      - .offset:         80
        .size:           4
        .value_kind:     by_value
      - .offset:         84
        .size:           4
        .value_kind:     by_value
      - .offset:         88
        .size:           4
        .value_kind:     by_value
      - .offset:         92
        .size:           4
        .value_kind:     by_value
      - .offset:         96
        .size:           4
        .value_kind:     hidden_block_count_x
      - .offset:         100
        .size:           4
        .value_kind:     hidden_block_count_y
      - .offset:         104
        .size:           4
        .value_kind:     hidden_block_count_z
      - .offset:         108
        .size:           2
        .value_kind:     hidden_group_size_x
      - .offset:         110
        .size:           2
        .value_kind:     hidden_group_size_y
      - .offset:         112
        .size:           2
        .value_kind:     hidden_group_size_z
      - .offset:         114
        .size:           2
        .value_kind:     hidden_remainder_x
      - .offset:         116
        .size:           2
        .value_kind:     hidden_remainder_y
      - .offset:         118
        .size:           2
        .value_kind:     hidden_remainder_z
      - .offset:         136
        .size:           8
        .value_kind:     hidden_global_offset_x
      - .offset:         144
        .size:           8
        .value_kind:     hidden_global_offset_y
      - .offset:         152
        .size:           8
        .value_kind:     hidden_global_offset_z
      - .offset:         160
        .size:           2
        .value_kind:     hidden_grid_dims
      - .offset:         176
        .size:           8
        .value_kind:     hidden_hostcall_buffer
    .group_segment_fixed_size: 0
    .kernarg_segment_align: 8
    .kernarg_segment_size: 352
    .language:       OpenCL C
    .language_version:
      - 2
      - 0
    .max_flat_workgroup_size: 512
    .name:           _ZL9mul_mat_fIfLi32ELi3ELi8ELb1EEvPKT_PKfPKiPfiiiiiiiiiiiiiiii
    .private_segment_fixed_size: 16
    .sgpr_count:     38
    .sgpr_spill_count: 0
    .symbol:         _ZL9mul_mat_fIfLi32ELi3ELi8ELb1EEvPKT_PKfPKiPfiiiiiiiiiiiiiiii.kd
    .uniform_work_group_size: 1
    .uses_dynamic_stack: false
    .vgpr_count:     38
    .vgpr_spill_count: 0
    .wavefront_size: 64
  - .args:
      - .actual_access:  read_only
        .address_space:  global
        .offset:         0
        .size:           8
        .value_kind:     global_buffer
      - .actual_access:  read_only
        .address_space:  global
        .offset:         8
        .size:           8
        .value_kind:     global_buffer
      - .actual_access:  read_only
        .address_space:  global
        .offset:         16
        .size:           8
        .value_kind:     global_buffer
      - .actual_access:  read_only
        .address_space:  global
        .offset:         24
        .size:           8
        .value_kind:     global_buffer
      - .offset:         32
        .size:           4
        .value_kind:     by_value
      - .offset:         36
        .size:           4
        .value_kind:     by_value
      - .offset:         40
        .size:           4
        .value_kind:     by_value
      - .offset:         44
        .size:           4
        .value_kind:     by_value
      - .offset:         48
        .size:           4
        .value_kind:     by_value
      - .offset:         52
        .size:           4
        .value_kind:     by_value
      - .offset:         56
        .size:           4
        .value_kind:     by_value
      - .offset:         60
        .size:           4
        .value_kind:     by_value
      - .offset:         64
        .size:           4
        .value_kind:     by_value
      - .offset:         68
        .size:           4
        .value_kind:     by_value
      - .offset:         72
        .size:           4
        .value_kind:     by_value
      - .offset:         76
        .size:           4
        .value_kind:     by_value
      - .offset:         80
        .size:           4
        .value_kind:     by_value
      - .offset:         84
        .size:           4
        .value_kind:     by_value
      - .offset:         88
        .size:           4
        .value_kind:     by_value
      - .offset:         92
        .size:           4
        .value_kind:     by_value
      - .offset:         96
        .size:           4
        .value_kind:     hidden_block_count_x
      - .offset:         100
        .size:           4
        .value_kind:     hidden_block_count_y
      - .offset:         104
        .size:           4
        .value_kind:     hidden_block_count_z
      - .offset:         108
        .size:           2
        .value_kind:     hidden_group_size_x
      - .offset:         110
        .size:           2
        .value_kind:     hidden_group_size_y
      - .offset:         112
        .size:           2
        .value_kind:     hidden_group_size_z
      - .offset:         114
        .size:           2
        .value_kind:     hidden_remainder_x
      - .offset:         116
        .size:           2
        .value_kind:     hidden_remainder_y
      - .offset:         118
        .size:           2
        .value_kind:     hidden_remainder_z
      - .offset:         136
        .size:           8
        .value_kind:     hidden_global_offset_x
      - .offset:         144
        .size:           8
        .value_kind:     hidden_global_offset_y
      - .offset:         152
        .size:           8
        .value_kind:     hidden_global_offset_z
      - .offset:         160
        .size:           2
        .value_kind:     hidden_grid_dims
      - .offset:         176
        .size:           8
        .value_kind:     hidden_hostcall_buffer
    .group_segment_fixed_size: 0
    .kernarg_segment_align: 8
    .kernarg_segment_size: 352
    .language:       OpenCL C
    .language_version:
      - 2
      - 0
    .max_flat_workgroup_size: 512
    .name:           _ZL9mul_mat_fIfLi32ELi3ELi8ELb0EEvPKT_PKfPKiPfiiiiiiiiiiiiiiii
    .private_segment_fixed_size: 16
    .sgpr_count:     38
    .sgpr_spill_count: 0
    .symbol:         _ZL9mul_mat_fIfLi32ELi3ELi8ELb0EEvPKT_PKfPKiPfiiiiiiiiiiiiiiii.kd
    .uniform_work_group_size: 1
    .uses_dynamic_stack: false
    .vgpr_count:     38
    .vgpr_spill_count: 0
    .wavefront_size: 64
  - .args:
      - .actual_access:  read_only
        .address_space:  global
        .offset:         0
        .size:           8
        .value_kind:     global_buffer
      - .actual_access:  read_only
        .address_space:  global
        .offset:         8
        .size:           8
        .value_kind:     global_buffer
      - .actual_access:  read_only
        .address_space:  global
        .offset:         16
        .size:           8
        .value_kind:     global_buffer
      - .actual_access:  read_only
        .address_space:  global
        .offset:         24
        .size:           8
        .value_kind:     global_buffer
      - .actual_access:  read_only
        .address_space:  global
        .offset:         32
        .size:           8
        .value_kind:     global_buffer
      - .actual_access:  read_only
        .address_space:  global
        .offset:         40
        .size:           8
        .value_kind:     global_buffer
      - .offset:         48
        .size:           4
        .value_kind:     by_value
      - .offset:         52
        .size:           4
        .value_kind:     by_value
      - .offset:         56
        .size:           4
        .value_kind:     by_value
      - .offset:         60
        .size:           4
        .value_kind:     by_value
      - .offset:         64
        .size:           4
        .value_kind:     by_value
      - .offset:         68
        .size:           4
        .value_kind:     by_value
      - .offset:         72
        .size:           4
        .value_kind:     by_value
      - .offset:         76
        .size:           4
        .value_kind:     by_value
      - .offset:         80
        .size:           4
        .value_kind:     by_value
      - .offset:         84
        .size:           4
        .value_kind:     by_value
      - .offset:         88
        .size:           4
        .value_kind:     by_value
      - .offset:         92
        .size:           4
        .value_kind:     by_value
      - .offset:         96
        .size:           4
        .value_kind:     by_value
      - .offset:         100
        .size:           4
        .value_kind:     by_value
      - .offset:         104
        .size:           12
        .value_kind:     by_value
      - .offset:         116
        .size:           12
        .value_kind:     by_value
      - .offset:         128
        .size:           4
        .value_kind:     hidden_block_count_x
      - .offset:         132
        .size:           4
        .value_kind:     hidden_block_count_y
      - .offset:         136
        .size:           4
        .value_kind:     hidden_block_count_z
      - .offset:         140
        .size:           2
        .value_kind:     hidden_group_size_x
      - .offset:         142
        .size:           2
        .value_kind:     hidden_group_size_y
      - .offset:         144
        .size:           2
        .value_kind:     hidden_group_size_z
      - .offset:         146
        .size:           2
        .value_kind:     hidden_remainder_x
      - .offset:         148
        .size:           2
        .value_kind:     hidden_remainder_y
      - .offset:         150
        .size:           2
        .value_kind:     hidden_remainder_z
      - .offset:         168
        .size:           8
        .value_kind:     hidden_global_offset_x
      - .offset:         176
        .size:           8
        .value_kind:     hidden_global_offset_y
      - .offset:         184
        .size:           8
        .value_kind:     hidden_global_offset_z
      - .offset:         192
        .size:           2
        .value_kind:     hidden_grid_dims
      - .offset:         208
        .size:           8
        .value_kind:     hidden_hostcall_buffer
    .group_segment_fixed_size: 0
    .kernarg_segment_align: 8
    .kernarg_segment_size: 384
    .language:       OpenCL C
    .language_version:
      - 2
      - 0
    .max_flat_workgroup_size: 64
    .name:           _ZL13mul_mat_f_idsI7__half2Li32ELi3ELi1EEvPKT_PKfPKiS7_S7_Pfiiiiiiiiiiiiii15HIP_vector_typeIjLj3EESA_
    .private_segment_fixed_size: 16
    .sgpr_count:     38
    .sgpr_spill_count: 0
    .symbol:         _ZL13mul_mat_f_idsI7__half2Li32ELi3ELi1EEvPKT_PKfPKiS7_S7_Pfiiiiiiiiiiiiii15HIP_vector_typeIjLj3EESA_.kd
    .uniform_work_group_size: 1
    .uses_dynamic_stack: false
    .vgpr_count:     38
    .vgpr_spill_count: 0
    .wavefront_size: 64
  - .args:
      - .actual_access:  read_only
        .address_space:  global
        .offset:         0
        .size:           8
        .value_kind:     global_buffer
      - .actual_access:  read_only
        .address_space:  global
        .offset:         8
        .size:           8
        .value_kind:     global_buffer
      - .actual_access:  read_only
        .address_space:  global
        .offset:         16
        .size:           8
        .value_kind:     global_buffer
      - .actual_access:  read_only
        .address_space:  global
        .offset:         24
        .size:           8
        .value_kind:     global_buffer
      - .offset:         32
        .size:           4
        .value_kind:     by_value
      - .offset:         36
        .size:           4
        .value_kind:     by_value
      - .offset:         40
        .size:           4
        .value_kind:     by_value
      - .offset:         44
        .size:           4
        .value_kind:     by_value
      - .offset:         48
        .size:           4
        .value_kind:     by_value
      - .offset:         52
        .size:           4
        .value_kind:     by_value
      - .offset:         56
        .size:           4
        .value_kind:     by_value
      - .offset:         60
        .size:           4
        .value_kind:     by_value
      - .offset:         64
        .size:           4
        .value_kind:     by_value
      - .offset:         68
        .size:           4
        .value_kind:     by_value
      - .offset:         72
        .size:           4
        .value_kind:     by_value
      - .offset:         76
        .size:           4
        .value_kind:     by_value
      - .offset:         80
        .size:           4
        .value_kind:     by_value
      - .offset:         84
        .size:           4
        .value_kind:     by_value
      - .offset:         88
        .size:           4
        .value_kind:     by_value
      - .offset:         92
        .size:           4
        .value_kind:     by_value
      - .offset:         96
        .size:           4
        .value_kind:     hidden_block_count_x
      - .offset:         100
        .size:           4
        .value_kind:     hidden_block_count_y
      - .offset:         104
        .size:           4
        .value_kind:     hidden_block_count_z
      - .offset:         108
        .size:           2
        .value_kind:     hidden_group_size_x
      - .offset:         110
        .size:           2
        .value_kind:     hidden_group_size_y
      - .offset:         112
        .size:           2
        .value_kind:     hidden_group_size_z
      - .offset:         114
        .size:           2
        .value_kind:     hidden_remainder_x
      - .offset:         116
        .size:           2
        .value_kind:     hidden_remainder_y
      - .offset:         118
        .size:           2
        .value_kind:     hidden_remainder_z
      - .offset:         136
        .size:           8
        .value_kind:     hidden_global_offset_x
      - .offset:         144
        .size:           8
        .value_kind:     hidden_global_offset_y
      - .offset:         152
        .size:           8
        .value_kind:     hidden_global_offset_z
      - .offset:         160
        .size:           2
        .value_kind:     hidden_grid_dims
      - .offset:         176
        .size:           8
        .value_kind:     hidden_hostcall_buffer
    .group_segment_fixed_size: 0
    .kernarg_segment_align: 8
    .kernarg_segment_size: 352
    .language:       OpenCL C
    .language_version:
      - 2
      - 0
    .max_flat_workgroup_size: 64
    .name:           _ZL9mul_mat_fI7__half2Li32ELi3ELi1ELb1EEvPKT_PKfPKiPfiiiiiiiiiiiiiiii
    .private_segment_fixed_size: 16
    .sgpr_count:     38
    .sgpr_spill_count: 0
    .symbol:         _ZL9mul_mat_fI7__half2Li32ELi3ELi1ELb1EEvPKT_PKfPKiPfiiiiiiiiiiiiiiii.kd
    .uniform_work_group_size: 1
    .uses_dynamic_stack: false
    .vgpr_count:     38
    .vgpr_spill_count: 0
    .wavefront_size: 64
  - .args:
      - .actual_access:  read_only
        .address_space:  global
        .offset:         0
        .size:           8
        .value_kind:     global_buffer
      - .actual_access:  read_only
        .address_space:  global
        .offset:         8
        .size:           8
        .value_kind:     global_buffer
      - .actual_access:  read_only
        .address_space:  global
        .offset:         16
        .size:           8
        .value_kind:     global_buffer
      - .actual_access:  read_only
        .address_space:  global
        .offset:         24
        .size:           8
        .value_kind:     global_buffer
      - .offset:         32
        .size:           4
        .value_kind:     by_value
      - .offset:         36
        .size:           4
        .value_kind:     by_value
      - .offset:         40
        .size:           4
        .value_kind:     by_value
      - .offset:         44
        .size:           4
        .value_kind:     by_value
      - .offset:         48
        .size:           4
        .value_kind:     by_value
      - .offset:         52
        .size:           4
        .value_kind:     by_value
      - .offset:         56
        .size:           4
        .value_kind:     by_value
      - .offset:         60
        .size:           4
        .value_kind:     by_value
      - .offset:         64
        .size:           4
        .value_kind:     by_value
      - .offset:         68
        .size:           4
        .value_kind:     by_value
      - .offset:         72
        .size:           4
        .value_kind:     by_value
      - .offset:         76
        .size:           4
        .value_kind:     by_value
      - .offset:         80
        .size:           4
        .value_kind:     by_value
      - .offset:         84
        .size:           4
        .value_kind:     by_value
      - .offset:         88
        .size:           4
        .value_kind:     by_value
      - .offset:         92
        .size:           4
        .value_kind:     by_value
      - .offset:         96
        .size:           4
        .value_kind:     hidden_block_count_x
      - .offset:         100
        .size:           4
        .value_kind:     hidden_block_count_y
      - .offset:         104
        .size:           4
        .value_kind:     hidden_block_count_z
      - .offset:         108
        .size:           2
        .value_kind:     hidden_group_size_x
      - .offset:         110
        .size:           2
        .value_kind:     hidden_group_size_y
      - .offset:         112
        .size:           2
        .value_kind:     hidden_group_size_z
      - .offset:         114
        .size:           2
        .value_kind:     hidden_remainder_x
      - .offset:         116
        .size:           2
        .value_kind:     hidden_remainder_y
      - .offset:         118
        .size:           2
        .value_kind:     hidden_remainder_z
      - .offset:         136
        .size:           8
        .value_kind:     hidden_global_offset_x
      - .offset:         144
        .size:           8
        .value_kind:     hidden_global_offset_y
      - .offset:         152
        .size:           8
        .value_kind:     hidden_global_offset_z
      - .offset:         160
        .size:           2
        .value_kind:     hidden_grid_dims
      - .offset:         176
        .size:           8
        .value_kind:     hidden_hostcall_buffer
    .group_segment_fixed_size: 0
    .kernarg_segment_align: 8
    .kernarg_segment_size: 352
    .language:       OpenCL C
    .language_version:
      - 2
      - 0
    .max_flat_workgroup_size: 64
    .name:           _ZL9mul_mat_fI7__half2Li32ELi3ELi1ELb0EEvPKT_PKfPKiPfiiiiiiiiiiiiiiii
    .private_segment_fixed_size: 16
    .sgpr_count:     38
    .sgpr_spill_count: 0
    .symbol:         _ZL9mul_mat_fI7__half2Li32ELi3ELi1ELb0EEvPKT_PKfPKiPfiiiiiiiiiiiiiiii.kd
    .uniform_work_group_size: 1
    .uses_dynamic_stack: false
    .vgpr_count:     38
    .vgpr_spill_count: 0
    .wavefront_size: 64
  - .args:
      - .actual_access:  read_only
        .address_space:  global
        .offset:         0
        .size:           8
        .value_kind:     global_buffer
      - .actual_access:  read_only
        .address_space:  global
        .offset:         8
        .size:           8
        .value_kind:     global_buffer
      - .actual_access:  read_only
        .address_space:  global
        .offset:         16
        .size:           8
        .value_kind:     global_buffer
      - .actual_access:  read_only
        .address_space:  global
        .offset:         24
        .size:           8
        .value_kind:     global_buffer
      - .actual_access:  read_only
        .address_space:  global
        .offset:         32
        .size:           8
        .value_kind:     global_buffer
      - .actual_access:  read_only
        .address_space:  global
        .offset:         40
        .size:           8
        .value_kind:     global_buffer
      - .offset:         48
        .size:           4
        .value_kind:     by_value
      - .offset:         52
        .size:           4
        .value_kind:     by_value
      - .offset:         56
        .size:           4
        .value_kind:     by_value
      - .offset:         60
        .size:           4
        .value_kind:     by_value
      - .offset:         64
        .size:           4
        .value_kind:     by_value
      - .offset:         68
        .size:           4
        .value_kind:     by_value
      - .offset:         72
        .size:           4
        .value_kind:     by_value
      - .offset:         76
        .size:           4
        .value_kind:     by_value
      - .offset:         80
        .size:           4
        .value_kind:     by_value
      - .offset:         84
        .size:           4
        .value_kind:     by_value
      - .offset:         88
        .size:           4
        .value_kind:     by_value
      - .offset:         92
        .size:           4
        .value_kind:     by_value
      - .offset:         96
        .size:           4
        .value_kind:     by_value
      - .offset:         100
        .size:           4
        .value_kind:     by_value
      - .offset:         104
        .size:           12
        .value_kind:     by_value
      - .offset:         116
        .size:           12
        .value_kind:     by_value
      - .offset:         128
        .size:           4
        .value_kind:     hidden_block_count_x
      - .offset:         132
        .size:           4
        .value_kind:     hidden_block_count_y
      - .offset:         136
        .size:           4
        .value_kind:     hidden_block_count_z
      - .offset:         140
        .size:           2
        .value_kind:     hidden_group_size_x
      - .offset:         142
        .size:           2
        .value_kind:     hidden_group_size_y
      - .offset:         144
        .size:           2
        .value_kind:     hidden_group_size_z
      - .offset:         146
        .size:           2
        .value_kind:     hidden_remainder_x
      - .offset:         148
        .size:           2
        .value_kind:     hidden_remainder_y
      - .offset:         150
        .size:           2
        .value_kind:     hidden_remainder_z
      - .offset:         168
        .size:           8
        .value_kind:     hidden_global_offset_x
      - .offset:         176
        .size:           8
        .value_kind:     hidden_global_offset_y
      - .offset:         184
        .size:           8
        .value_kind:     hidden_global_offset_z
      - .offset:         192
        .size:           2
        .value_kind:     hidden_grid_dims
      - .offset:         208
        .size:           8
        .value_kind:     hidden_hostcall_buffer
    .group_segment_fixed_size: 0
    .kernarg_segment_align: 8
    .kernarg_segment_size: 384
    .language:       OpenCL C
    .language_version:
      - 2
      - 0
    .max_flat_workgroup_size: 128
    .name:           _ZL13mul_mat_f_idsI7__half2Li32ELi3ELi2EEvPKT_PKfPKiS7_S7_Pfiiiiiiiiiiiiii15HIP_vector_typeIjLj3EESA_
    .private_segment_fixed_size: 16
    .sgpr_count:     38
    .sgpr_spill_count: 0
    .symbol:         _ZL13mul_mat_f_idsI7__half2Li32ELi3ELi2EEvPKT_PKfPKiS7_S7_Pfiiiiiiiiiiiiii15HIP_vector_typeIjLj3EESA_.kd
    .uniform_work_group_size: 1
    .uses_dynamic_stack: false
    .vgpr_count:     38
    .vgpr_spill_count: 0
    .wavefront_size: 64
  - .args:
      - .actual_access:  read_only
        .address_space:  global
        .offset:         0
        .size:           8
        .value_kind:     global_buffer
      - .actual_access:  read_only
        .address_space:  global
        .offset:         8
        .size:           8
        .value_kind:     global_buffer
      - .actual_access:  read_only
        .address_space:  global
        .offset:         16
        .size:           8
        .value_kind:     global_buffer
      - .actual_access:  read_only
        .address_space:  global
        .offset:         24
        .size:           8
        .value_kind:     global_buffer
      - .offset:         32
        .size:           4
        .value_kind:     by_value
      - .offset:         36
        .size:           4
        .value_kind:     by_value
      - .offset:         40
        .size:           4
        .value_kind:     by_value
      - .offset:         44
        .size:           4
        .value_kind:     by_value
      - .offset:         48
        .size:           4
        .value_kind:     by_value
      - .offset:         52
        .size:           4
        .value_kind:     by_value
      - .offset:         56
        .size:           4
        .value_kind:     by_value
      - .offset:         60
        .size:           4
        .value_kind:     by_value
      - .offset:         64
        .size:           4
        .value_kind:     by_value
      - .offset:         68
        .size:           4
        .value_kind:     by_value
      - .offset:         72
        .size:           4
        .value_kind:     by_value
      - .offset:         76
        .size:           4
        .value_kind:     by_value
      - .offset:         80
        .size:           4
        .value_kind:     by_value
      - .offset:         84
        .size:           4
        .value_kind:     by_value
      - .offset:         88
        .size:           4
        .value_kind:     by_value
      - .offset:         92
        .size:           4
        .value_kind:     by_value
      - .offset:         96
        .size:           4
        .value_kind:     hidden_block_count_x
      - .offset:         100
        .size:           4
        .value_kind:     hidden_block_count_y
      - .offset:         104
        .size:           4
        .value_kind:     hidden_block_count_z
      - .offset:         108
        .size:           2
        .value_kind:     hidden_group_size_x
      - .offset:         110
        .size:           2
        .value_kind:     hidden_group_size_y
      - .offset:         112
        .size:           2
        .value_kind:     hidden_group_size_z
      - .offset:         114
        .size:           2
        .value_kind:     hidden_remainder_x
      - .offset:         116
        .size:           2
        .value_kind:     hidden_remainder_y
      - .offset:         118
        .size:           2
        .value_kind:     hidden_remainder_z
      - .offset:         136
        .size:           8
        .value_kind:     hidden_global_offset_x
      - .offset:         144
        .size:           8
        .value_kind:     hidden_global_offset_y
      - .offset:         152
        .size:           8
        .value_kind:     hidden_global_offset_z
      - .offset:         160
        .size:           2
        .value_kind:     hidden_grid_dims
      - .offset:         176
        .size:           8
        .value_kind:     hidden_hostcall_buffer
    .group_segment_fixed_size: 0
    .kernarg_segment_align: 8
    .kernarg_segment_size: 352
    .language:       OpenCL C
    .language_version:
      - 2
      - 0
    .max_flat_workgroup_size: 128
    .name:           _ZL9mul_mat_fI7__half2Li32ELi3ELi2ELb1EEvPKT_PKfPKiPfiiiiiiiiiiiiiiii
    .private_segment_fixed_size: 16
    .sgpr_count:     38
    .sgpr_spill_count: 0
    .symbol:         _ZL9mul_mat_fI7__half2Li32ELi3ELi2ELb1EEvPKT_PKfPKiPfiiiiiiiiiiiiiiii.kd
    .uniform_work_group_size: 1
    .uses_dynamic_stack: false
    .vgpr_count:     38
    .vgpr_spill_count: 0
    .wavefront_size: 64
  - .args:
      - .actual_access:  read_only
        .address_space:  global
        .offset:         0
        .size:           8
        .value_kind:     global_buffer
      - .actual_access:  read_only
        .address_space:  global
        .offset:         8
        .size:           8
        .value_kind:     global_buffer
      - .actual_access:  read_only
        .address_space:  global
        .offset:         16
        .size:           8
        .value_kind:     global_buffer
      - .actual_access:  read_only
        .address_space:  global
        .offset:         24
        .size:           8
        .value_kind:     global_buffer
      - .offset:         32
        .size:           4
        .value_kind:     by_value
      - .offset:         36
        .size:           4
        .value_kind:     by_value
      - .offset:         40
        .size:           4
        .value_kind:     by_value
      - .offset:         44
        .size:           4
        .value_kind:     by_value
      - .offset:         48
        .size:           4
        .value_kind:     by_value
      - .offset:         52
        .size:           4
        .value_kind:     by_value
      - .offset:         56
        .size:           4
        .value_kind:     by_value
      - .offset:         60
        .size:           4
        .value_kind:     by_value
      - .offset:         64
        .size:           4
        .value_kind:     by_value
      - .offset:         68
        .size:           4
        .value_kind:     by_value
      - .offset:         72
        .size:           4
        .value_kind:     by_value
      - .offset:         76
        .size:           4
        .value_kind:     by_value
      - .offset:         80
        .size:           4
        .value_kind:     by_value
      - .offset:         84
        .size:           4
        .value_kind:     by_value
      - .offset:         88
        .size:           4
        .value_kind:     by_value
      - .offset:         92
        .size:           4
        .value_kind:     by_value
      - .offset:         96
        .size:           4
        .value_kind:     hidden_block_count_x
      - .offset:         100
        .size:           4
        .value_kind:     hidden_block_count_y
      - .offset:         104
        .size:           4
        .value_kind:     hidden_block_count_z
      - .offset:         108
        .size:           2
        .value_kind:     hidden_group_size_x
      - .offset:         110
        .size:           2
        .value_kind:     hidden_group_size_y
      - .offset:         112
        .size:           2
        .value_kind:     hidden_group_size_z
      - .offset:         114
        .size:           2
        .value_kind:     hidden_remainder_x
      - .offset:         116
        .size:           2
        .value_kind:     hidden_remainder_y
      - .offset:         118
        .size:           2
        .value_kind:     hidden_remainder_z
      - .offset:         136
        .size:           8
        .value_kind:     hidden_global_offset_x
      - .offset:         144
        .size:           8
        .value_kind:     hidden_global_offset_y
      - .offset:         152
        .size:           8
        .value_kind:     hidden_global_offset_z
      - .offset:         160
        .size:           2
        .value_kind:     hidden_grid_dims
      - .offset:         176
        .size:           8
        .value_kind:     hidden_hostcall_buffer
    .group_segment_fixed_size: 0
    .kernarg_segment_align: 8
    .kernarg_segment_size: 352
    .language:       OpenCL C
    .language_version:
      - 2
      - 0
    .max_flat_workgroup_size: 128
    .name:           _ZL9mul_mat_fI7__half2Li32ELi3ELi2ELb0EEvPKT_PKfPKiPfiiiiiiiiiiiiiiii
    .private_segment_fixed_size: 16
    .sgpr_count:     38
    .sgpr_spill_count: 0
    .symbol:         _ZL9mul_mat_fI7__half2Li32ELi3ELi2ELb0EEvPKT_PKfPKiPfiiiiiiiiiiiiiiii.kd
    .uniform_work_group_size: 1
    .uses_dynamic_stack: false
    .vgpr_count:     38
    .vgpr_spill_count: 0
    .wavefront_size: 64
  - .args:
      - .actual_access:  read_only
        .address_space:  global
        .offset:         0
        .size:           8
        .value_kind:     global_buffer
      - .actual_access:  read_only
        .address_space:  global
        .offset:         8
        .size:           8
        .value_kind:     global_buffer
      - .actual_access:  read_only
        .address_space:  global
        .offset:         16
        .size:           8
        .value_kind:     global_buffer
      - .actual_access:  read_only
        .address_space:  global
        .offset:         24
        .size:           8
        .value_kind:     global_buffer
      - .actual_access:  read_only
        .address_space:  global
        .offset:         32
        .size:           8
        .value_kind:     global_buffer
      - .actual_access:  read_only
        .address_space:  global
        .offset:         40
        .size:           8
        .value_kind:     global_buffer
      - .offset:         48
        .size:           4
        .value_kind:     by_value
      - .offset:         52
        .size:           4
        .value_kind:     by_value
      - .offset:         56
        .size:           4
        .value_kind:     by_value
      - .offset:         60
        .size:           4
        .value_kind:     by_value
      - .offset:         64
        .size:           4
        .value_kind:     by_value
      - .offset:         68
        .size:           4
        .value_kind:     by_value
      - .offset:         72
        .size:           4
        .value_kind:     by_value
      - .offset:         76
        .size:           4
        .value_kind:     by_value
      - .offset:         80
        .size:           4
        .value_kind:     by_value
      - .offset:         84
        .size:           4
        .value_kind:     by_value
      - .offset:         88
        .size:           4
        .value_kind:     by_value
      - .offset:         92
        .size:           4
        .value_kind:     by_value
      - .offset:         96
        .size:           4
        .value_kind:     by_value
      - .offset:         100
        .size:           4
        .value_kind:     by_value
      - .offset:         104
        .size:           12
        .value_kind:     by_value
      - .offset:         116
        .size:           12
        .value_kind:     by_value
      - .offset:         128
        .size:           4
        .value_kind:     hidden_block_count_x
      - .offset:         132
        .size:           4
        .value_kind:     hidden_block_count_y
      - .offset:         136
        .size:           4
        .value_kind:     hidden_block_count_z
      - .offset:         140
        .size:           2
        .value_kind:     hidden_group_size_x
      - .offset:         142
        .size:           2
        .value_kind:     hidden_group_size_y
      - .offset:         144
        .size:           2
        .value_kind:     hidden_group_size_z
      - .offset:         146
        .size:           2
        .value_kind:     hidden_remainder_x
      - .offset:         148
        .size:           2
        .value_kind:     hidden_remainder_y
      - .offset:         150
        .size:           2
        .value_kind:     hidden_remainder_z
      - .offset:         168
        .size:           8
        .value_kind:     hidden_global_offset_x
      - .offset:         176
        .size:           8
        .value_kind:     hidden_global_offset_y
      - .offset:         184
        .size:           8
        .value_kind:     hidden_global_offset_z
      - .offset:         192
        .size:           2
        .value_kind:     hidden_grid_dims
      - .offset:         208
        .size:           8
        .value_kind:     hidden_hostcall_buffer
    .group_segment_fixed_size: 0
    .kernarg_segment_align: 8
    .kernarg_segment_size: 384
    .language:       OpenCL C
    .language_version:
      - 2
      - 0
    .max_flat_workgroup_size: 192
    .name:           _ZL13mul_mat_f_idsI7__half2Li32ELi3ELi3EEvPKT_PKfPKiS7_S7_Pfiiiiiiiiiiiiii15HIP_vector_typeIjLj3EESA_
    .private_segment_fixed_size: 16
    .sgpr_count:     38
    .sgpr_spill_count: 0
    .symbol:         _ZL13mul_mat_f_idsI7__half2Li32ELi3ELi3EEvPKT_PKfPKiS7_S7_Pfiiiiiiiiiiiiii15HIP_vector_typeIjLj3EESA_.kd
    .uniform_work_group_size: 1
    .uses_dynamic_stack: false
    .vgpr_count:     38
    .vgpr_spill_count: 0
    .wavefront_size: 64
  - .args:
      - .actual_access:  read_only
        .address_space:  global
        .offset:         0
        .size:           8
        .value_kind:     global_buffer
      - .actual_access:  read_only
        .address_space:  global
        .offset:         8
        .size:           8
        .value_kind:     global_buffer
      - .actual_access:  read_only
        .address_space:  global
        .offset:         16
        .size:           8
        .value_kind:     global_buffer
      - .actual_access:  read_only
        .address_space:  global
        .offset:         24
        .size:           8
        .value_kind:     global_buffer
      - .offset:         32
        .size:           4
        .value_kind:     by_value
      - .offset:         36
        .size:           4
        .value_kind:     by_value
      - .offset:         40
        .size:           4
        .value_kind:     by_value
      - .offset:         44
        .size:           4
        .value_kind:     by_value
      - .offset:         48
        .size:           4
        .value_kind:     by_value
      - .offset:         52
        .size:           4
        .value_kind:     by_value
      - .offset:         56
        .size:           4
        .value_kind:     by_value
      - .offset:         60
        .size:           4
        .value_kind:     by_value
      - .offset:         64
        .size:           4
        .value_kind:     by_value
      - .offset:         68
        .size:           4
        .value_kind:     by_value
      - .offset:         72
        .size:           4
        .value_kind:     by_value
      - .offset:         76
        .size:           4
        .value_kind:     by_value
      - .offset:         80
        .size:           4
        .value_kind:     by_value
      - .offset:         84
        .size:           4
        .value_kind:     by_value
      - .offset:         88
        .size:           4
        .value_kind:     by_value
      - .offset:         92
        .size:           4
        .value_kind:     by_value
      - .offset:         96
        .size:           4
        .value_kind:     hidden_block_count_x
      - .offset:         100
        .size:           4
        .value_kind:     hidden_block_count_y
      - .offset:         104
        .size:           4
        .value_kind:     hidden_block_count_z
      - .offset:         108
        .size:           2
        .value_kind:     hidden_group_size_x
      - .offset:         110
        .size:           2
        .value_kind:     hidden_group_size_y
      - .offset:         112
        .size:           2
        .value_kind:     hidden_group_size_z
      - .offset:         114
        .size:           2
        .value_kind:     hidden_remainder_x
      - .offset:         116
        .size:           2
        .value_kind:     hidden_remainder_y
      - .offset:         118
        .size:           2
        .value_kind:     hidden_remainder_z
      - .offset:         136
        .size:           8
        .value_kind:     hidden_global_offset_x
      - .offset:         144
        .size:           8
        .value_kind:     hidden_global_offset_y
      - .offset:         152
        .size:           8
        .value_kind:     hidden_global_offset_z
      - .offset:         160
        .size:           2
        .value_kind:     hidden_grid_dims
      - .offset:         176
        .size:           8
        .value_kind:     hidden_hostcall_buffer
    .group_segment_fixed_size: 0
    .kernarg_segment_align: 8
    .kernarg_segment_size: 352
    .language:       OpenCL C
    .language_version:
      - 2
      - 0
    .max_flat_workgroup_size: 192
    .name:           _ZL9mul_mat_fI7__half2Li32ELi3ELi3ELb1EEvPKT_PKfPKiPfiiiiiiiiiiiiiiii
    .private_segment_fixed_size: 16
    .sgpr_count:     38
    .sgpr_spill_count: 0
    .symbol:         _ZL9mul_mat_fI7__half2Li32ELi3ELi3ELb1EEvPKT_PKfPKiPfiiiiiiiiiiiiiiii.kd
    .uniform_work_group_size: 1
    .uses_dynamic_stack: false
    .vgpr_count:     38
    .vgpr_spill_count: 0
    .wavefront_size: 64
  - .args:
      - .actual_access:  read_only
        .address_space:  global
        .offset:         0
        .size:           8
        .value_kind:     global_buffer
      - .actual_access:  read_only
        .address_space:  global
        .offset:         8
        .size:           8
        .value_kind:     global_buffer
      - .actual_access:  read_only
        .address_space:  global
        .offset:         16
        .size:           8
        .value_kind:     global_buffer
      - .actual_access:  read_only
        .address_space:  global
        .offset:         24
        .size:           8
        .value_kind:     global_buffer
      - .offset:         32
        .size:           4
        .value_kind:     by_value
      - .offset:         36
        .size:           4
        .value_kind:     by_value
      - .offset:         40
        .size:           4
        .value_kind:     by_value
      - .offset:         44
        .size:           4
        .value_kind:     by_value
      - .offset:         48
        .size:           4
        .value_kind:     by_value
      - .offset:         52
        .size:           4
        .value_kind:     by_value
      - .offset:         56
        .size:           4
        .value_kind:     by_value
      - .offset:         60
        .size:           4
        .value_kind:     by_value
      - .offset:         64
        .size:           4
        .value_kind:     by_value
      - .offset:         68
        .size:           4
        .value_kind:     by_value
      - .offset:         72
        .size:           4
        .value_kind:     by_value
      - .offset:         76
        .size:           4
        .value_kind:     by_value
      - .offset:         80
        .size:           4
        .value_kind:     by_value
      - .offset:         84
        .size:           4
        .value_kind:     by_value
      - .offset:         88
        .size:           4
        .value_kind:     by_value
      - .offset:         92
        .size:           4
        .value_kind:     by_value
      - .offset:         96
        .size:           4
        .value_kind:     hidden_block_count_x
      - .offset:         100
        .size:           4
        .value_kind:     hidden_block_count_y
      - .offset:         104
        .size:           4
        .value_kind:     hidden_block_count_z
      - .offset:         108
        .size:           2
        .value_kind:     hidden_group_size_x
      - .offset:         110
        .size:           2
        .value_kind:     hidden_group_size_y
      - .offset:         112
        .size:           2
        .value_kind:     hidden_group_size_z
      - .offset:         114
        .size:           2
        .value_kind:     hidden_remainder_x
      - .offset:         116
        .size:           2
        .value_kind:     hidden_remainder_y
      - .offset:         118
        .size:           2
        .value_kind:     hidden_remainder_z
      - .offset:         136
        .size:           8
        .value_kind:     hidden_global_offset_x
      - .offset:         144
        .size:           8
        .value_kind:     hidden_global_offset_y
      - .offset:         152
        .size:           8
        .value_kind:     hidden_global_offset_z
      - .offset:         160
        .size:           2
        .value_kind:     hidden_grid_dims
      - .offset:         176
        .size:           8
        .value_kind:     hidden_hostcall_buffer
    .group_segment_fixed_size: 0
    .kernarg_segment_align: 8
    .kernarg_segment_size: 352
    .language:       OpenCL C
    .language_version:
      - 2
      - 0
    .max_flat_workgroup_size: 192
    .name:           _ZL9mul_mat_fI7__half2Li32ELi3ELi3ELb0EEvPKT_PKfPKiPfiiiiiiiiiiiiiiii
    .private_segment_fixed_size: 16
    .sgpr_count:     38
    .sgpr_spill_count: 0
    .symbol:         _ZL9mul_mat_fI7__half2Li32ELi3ELi3ELb0EEvPKT_PKfPKiPfiiiiiiiiiiiiiiii.kd
    .uniform_work_group_size: 1
    .uses_dynamic_stack: false
    .vgpr_count:     38
    .vgpr_spill_count: 0
    .wavefront_size: 64
  - .args:
      - .actual_access:  read_only
        .address_space:  global
        .offset:         0
        .size:           8
        .value_kind:     global_buffer
      - .actual_access:  read_only
        .address_space:  global
        .offset:         8
        .size:           8
        .value_kind:     global_buffer
      - .actual_access:  read_only
        .address_space:  global
        .offset:         16
        .size:           8
        .value_kind:     global_buffer
      - .actual_access:  read_only
        .address_space:  global
        .offset:         24
        .size:           8
        .value_kind:     global_buffer
      - .actual_access:  read_only
        .address_space:  global
        .offset:         32
        .size:           8
        .value_kind:     global_buffer
      - .actual_access:  read_only
        .address_space:  global
        .offset:         40
        .size:           8
        .value_kind:     global_buffer
      - .offset:         48
        .size:           4
        .value_kind:     by_value
      - .offset:         52
        .size:           4
        .value_kind:     by_value
      - .offset:         56
        .size:           4
        .value_kind:     by_value
      - .offset:         60
        .size:           4
        .value_kind:     by_value
      - .offset:         64
        .size:           4
        .value_kind:     by_value
      - .offset:         68
        .size:           4
        .value_kind:     by_value
      - .offset:         72
        .size:           4
        .value_kind:     by_value
      - .offset:         76
        .size:           4
        .value_kind:     by_value
      - .offset:         80
        .size:           4
        .value_kind:     by_value
      - .offset:         84
        .size:           4
        .value_kind:     by_value
      - .offset:         88
        .size:           4
        .value_kind:     by_value
      - .offset:         92
        .size:           4
        .value_kind:     by_value
      - .offset:         96
        .size:           4
        .value_kind:     by_value
      - .offset:         100
        .size:           4
        .value_kind:     by_value
      - .offset:         104
        .size:           12
        .value_kind:     by_value
      - .offset:         116
        .size:           12
        .value_kind:     by_value
      - .offset:         128
        .size:           4
        .value_kind:     hidden_block_count_x
      - .offset:         132
        .size:           4
        .value_kind:     hidden_block_count_y
      - .offset:         136
        .size:           4
        .value_kind:     hidden_block_count_z
      - .offset:         140
        .size:           2
        .value_kind:     hidden_group_size_x
      - .offset:         142
        .size:           2
        .value_kind:     hidden_group_size_y
      - .offset:         144
        .size:           2
        .value_kind:     hidden_group_size_z
      - .offset:         146
        .size:           2
        .value_kind:     hidden_remainder_x
      - .offset:         148
        .size:           2
        .value_kind:     hidden_remainder_y
      - .offset:         150
        .size:           2
        .value_kind:     hidden_remainder_z
      - .offset:         168
        .size:           8
        .value_kind:     hidden_global_offset_x
      - .offset:         176
        .size:           8
        .value_kind:     hidden_global_offset_y
      - .offset:         184
        .size:           8
        .value_kind:     hidden_global_offset_z
      - .offset:         192
        .size:           2
        .value_kind:     hidden_grid_dims
      - .offset:         208
        .size:           8
        .value_kind:     hidden_hostcall_buffer
    .group_segment_fixed_size: 0
    .kernarg_segment_align: 8
    .kernarg_segment_size: 384
    .language:       OpenCL C
    .language_version:
      - 2
      - 0
    .max_flat_workgroup_size: 256
    .name:           _ZL13mul_mat_f_idsI7__half2Li32ELi3ELi4EEvPKT_PKfPKiS7_S7_Pfiiiiiiiiiiiiii15HIP_vector_typeIjLj3EESA_
    .private_segment_fixed_size: 16
    .sgpr_count:     38
    .sgpr_spill_count: 0
    .symbol:         _ZL13mul_mat_f_idsI7__half2Li32ELi3ELi4EEvPKT_PKfPKiS7_S7_Pfiiiiiiiiiiiiii15HIP_vector_typeIjLj3EESA_.kd
    .uniform_work_group_size: 1
    .uses_dynamic_stack: false
    .vgpr_count:     38
    .vgpr_spill_count: 0
    .wavefront_size: 64
  - .args:
      - .actual_access:  read_only
        .address_space:  global
        .offset:         0
        .size:           8
        .value_kind:     global_buffer
      - .actual_access:  read_only
        .address_space:  global
        .offset:         8
        .size:           8
        .value_kind:     global_buffer
      - .actual_access:  read_only
        .address_space:  global
        .offset:         16
        .size:           8
        .value_kind:     global_buffer
      - .actual_access:  read_only
        .address_space:  global
        .offset:         24
        .size:           8
        .value_kind:     global_buffer
      - .offset:         32
        .size:           4
        .value_kind:     by_value
      - .offset:         36
        .size:           4
        .value_kind:     by_value
      - .offset:         40
        .size:           4
        .value_kind:     by_value
      - .offset:         44
        .size:           4
        .value_kind:     by_value
      - .offset:         48
        .size:           4
        .value_kind:     by_value
      - .offset:         52
        .size:           4
        .value_kind:     by_value
      - .offset:         56
        .size:           4
        .value_kind:     by_value
      - .offset:         60
        .size:           4
        .value_kind:     by_value
      - .offset:         64
        .size:           4
        .value_kind:     by_value
      - .offset:         68
        .size:           4
        .value_kind:     by_value
      - .offset:         72
        .size:           4
        .value_kind:     by_value
      - .offset:         76
        .size:           4
        .value_kind:     by_value
      - .offset:         80
        .size:           4
        .value_kind:     by_value
      - .offset:         84
        .size:           4
        .value_kind:     by_value
      - .offset:         88
        .size:           4
        .value_kind:     by_value
      - .offset:         92
        .size:           4
        .value_kind:     by_value
      - .offset:         96
        .size:           4
        .value_kind:     hidden_block_count_x
      - .offset:         100
        .size:           4
        .value_kind:     hidden_block_count_y
      - .offset:         104
        .size:           4
        .value_kind:     hidden_block_count_z
      - .offset:         108
        .size:           2
        .value_kind:     hidden_group_size_x
      - .offset:         110
        .size:           2
        .value_kind:     hidden_group_size_y
      - .offset:         112
        .size:           2
        .value_kind:     hidden_group_size_z
      - .offset:         114
        .size:           2
        .value_kind:     hidden_remainder_x
      - .offset:         116
        .size:           2
        .value_kind:     hidden_remainder_y
      - .offset:         118
        .size:           2
        .value_kind:     hidden_remainder_z
      - .offset:         136
        .size:           8
        .value_kind:     hidden_global_offset_x
      - .offset:         144
        .size:           8
        .value_kind:     hidden_global_offset_y
      - .offset:         152
        .size:           8
        .value_kind:     hidden_global_offset_z
      - .offset:         160
        .size:           2
        .value_kind:     hidden_grid_dims
      - .offset:         176
        .size:           8
        .value_kind:     hidden_hostcall_buffer
    .group_segment_fixed_size: 0
    .kernarg_segment_align: 8
    .kernarg_segment_size: 352
    .language:       OpenCL C
    .language_version:
      - 2
      - 0
    .max_flat_workgroup_size: 256
    .name:           _ZL9mul_mat_fI7__half2Li32ELi3ELi4ELb1EEvPKT_PKfPKiPfiiiiiiiiiiiiiiii
    .private_segment_fixed_size: 16
    .sgpr_count:     38
    .sgpr_spill_count: 0
    .symbol:         _ZL9mul_mat_fI7__half2Li32ELi3ELi4ELb1EEvPKT_PKfPKiPfiiiiiiiiiiiiiiii.kd
    .uniform_work_group_size: 1
    .uses_dynamic_stack: false
    .vgpr_count:     38
    .vgpr_spill_count: 0
    .wavefront_size: 64
  - .args:
      - .actual_access:  read_only
        .address_space:  global
        .offset:         0
        .size:           8
        .value_kind:     global_buffer
      - .actual_access:  read_only
        .address_space:  global
        .offset:         8
        .size:           8
        .value_kind:     global_buffer
      - .actual_access:  read_only
        .address_space:  global
        .offset:         16
        .size:           8
        .value_kind:     global_buffer
      - .actual_access:  read_only
        .address_space:  global
        .offset:         24
        .size:           8
        .value_kind:     global_buffer
      - .offset:         32
        .size:           4
        .value_kind:     by_value
      - .offset:         36
        .size:           4
        .value_kind:     by_value
      - .offset:         40
        .size:           4
        .value_kind:     by_value
      - .offset:         44
        .size:           4
        .value_kind:     by_value
      - .offset:         48
        .size:           4
        .value_kind:     by_value
      - .offset:         52
        .size:           4
        .value_kind:     by_value
      - .offset:         56
        .size:           4
        .value_kind:     by_value
      - .offset:         60
        .size:           4
        .value_kind:     by_value
      - .offset:         64
        .size:           4
        .value_kind:     by_value
      - .offset:         68
        .size:           4
        .value_kind:     by_value
      - .offset:         72
        .size:           4
        .value_kind:     by_value
      - .offset:         76
        .size:           4
        .value_kind:     by_value
      - .offset:         80
        .size:           4
        .value_kind:     by_value
      - .offset:         84
        .size:           4
        .value_kind:     by_value
      - .offset:         88
        .size:           4
        .value_kind:     by_value
      - .offset:         92
        .size:           4
        .value_kind:     by_value
      - .offset:         96
        .size:           4
        .value_kind:     hidden_block_count_x
      - .offset:         100
        .size:           4
        .value_kind:     hidden_block_count_y
      - .offset:         104
        .size:           4
        .value_kind:     hidden_block_count_z
      - .offset:         108
        .size:           2
        .value_kind:     hidden_group_size_x
      - .offset:         110
        .size:           2
        .value_kind:     hidden_group_size_y
      - .offset:         112
        .size:           2
        .value_kind:     hidden_group_size_z
      - .offset:         114
        .size:           2
        .value_kind:     hidden_remainder_x
      - .offset:         116
        .size:           2
        .value_kind:     hidden_remainder_y
      - .offset:         118
        .size:           2
        .value_kind:     hidden_remainder_z
      - .offset:         136
        .size:           8
        .value_kind:     hidden_global_offset_x
      - .offset:         144
        .size:           8
        .value_kind:     hidden_global_offset_y
      - .offset:         152
        .size:           8
        .value_kind:     hidden_global_offset_z
      - .offset:         160
        .size:           2
        .value_kind:     hidden_grid_dims
      - .offset:         176
        .size:           8
        .value_kind:     hidden_hostcall_buffer
    .group_segment_fixed_size: 0
    .kernarg_segment_align: 8
    .kernarg_segment_size: 352
    .language:       OpenCL C
    .language_version:
      - 2
      - 0
    .max_flat_workgroup_size: 256
    .name:           _ZL9mul_mat_fI7__half2Li32ELi3ELi4ELb0EEvPKT_PKfPKiPfiiiiiiiiiiiiiiii
    .private_segment_fixed_size: 16
    .sgpr_count:     38
    .sgpr_spill_count: 0
    .symbol:         _ZL9mul_mat_fI7__half2Li32ELi3ELi4ELb0EEvPKT_PKfPKiPfiiiiiiiiiiiiiiii.kd
    .uniform_work_group_size: 1
    .uses_dynamic_stack: false
    .vgpr_count:     38
    .vgpr_spill_count: 0
    .wavefront_size: 64
  - .args:
      - .actual_access:  read_only
        .address_space:  global
        .offset:         0
        .size:           8
        .value_kind:     global_buffer
      - .actual_access:  read_only
        .address_space:  global
        .offset:         8
        .size:           8
        .value_kind:     global_buffer
      - .actual_access:  read_only
        .address_space:  global
        .offset:         16
        .size:           8
        .value_kind:     global_buffer
      - .actual_access:  read_only
        .address_space:  global
        .offset:         24
        .size:           8
        .value_kind:     global_buffer
      - .actual_access:  read_only
        .address_space:  global
        .offset:         32
        .size:           8
        .value_kind:     global_buffer
      - .actual_access:  read_only
        .address_space:  global
        .offset:         40
        .size:           8
        .value_kind:     global_buffer
      - .offset:         48
        .size:           4
        .value_kind:     by_value
      - .offset:         52
        .size:           4
        .value_kind:     by_value
      - .offset:         56
        .size:           4
        .value_kind:     by_value
      - .offset:         60
        .size:           4
        .value_kind:     by_value
      - .offset:         64
        .size:           4
        .value_kind:     by_value
      - .offset:         68
        .size:           4
        .value_kind:     by_value
      - .offset:         72
        .size:           4
        .value_kind:     by_value
      - .offset:         76
        .size:           4
        .value_kind:     by_value
      - .offset:         80
        .size:           4
        .value_kind:     by_value
      - .offset:         84
        .size:           4
        .value_kind:     by_value
      - .offset:         88
        .size:           4
        .value_kind:     by_value
      - .offset:         92
        .size:           4
        .value_kind:     by_value
      - .offset:         96
        .size:           4
        .value_kind:     by_value
      - .offset:         100
        .size:           4
        .value_kind:     by_value
      - .offset:         104
        .size:           12
        .value_kind:     by_value
      - .offset:         116
        .size:           12
        .value_kind:     by_value
      - .offset:         128
        .size:           4
        .value_kind:     hidden_block_count_x
      - .offset:         132
        .size:           4
        .value_kind:     hidden_block_count_y
      - .offset:         136
        .size:           4
        .value_kind:     hidden_block_count_z
      - .offset:         140
        .size:           2
        .value_kind:     hidden_group_size_x
      - .offset:         142
        .size:           2
        .value_kind:     hidden_group_size_y
      - .offset:         144
        .size:           2
        .value_kind:     hidden_group_size_z
      - .offset:         146
        .size:           2
        .value_kind:     hidden_remainder_x
      - .offset:         148
        .size:           2
        .value_kind:     hidden_remainder_y
      - .offset:         150
        .size:           2
        .value_kind:     hidden_remainder_z
      - .offset:         168
        .size:           8
        .value_kind:     hidden_global_offset_x
      - .offset:         176
        .size:           8
        .value_kind:     hidden_global_offset_y
      - .offset:         184
        .size:           8
        .value_kind:     hidden_global_offset_z
      - .offset:         192
        .size:           2
        .value_kind:     hidden_grid_dims
      - .offset:         208
        .size:           8
        .value_kind:     hidden_hostcall_buffer
    .group_segment_fixed_size: 0
    .kernarg_segment_align: 8
    .kernarg_segment_size: 384
    .language:       OpenCL C
    .language_version:
      - 2
      - 0
    .max_flat_workgroup_size: 320
    .name:           _ZL13mul_mat_f_idsI7__half2Li32ELi3ELi5EEvPKT_PKfPKiS7_S7_Pfiiiiiiiiiiiiii15HIP_vector_typeIjLj3EESA_
    .private_segment_fixed_size: 16
    .sgpr_count:     38
    .sgpr_spill_count: 0
    .symbol:         _ZL13mul_mat_f_idsI7__half2Li32ELi3ELi5EEvPKT_PKfPKiS7_S7_Pfiiiiiiiiiiiiii15HIP_vector_typeIjLj3EESA_.kd
    .uniform_work_group_size: 1
    .uses_dynamic_stack: false
    .vgpr_count:     38
    .vgpr_spill_count: 0
    .wavefront_size: 64
  - .args:
      - .actual_access:  read_only
        .address_space:  global
        .offset:         0
        .size:           8
        .value_kind:     global_buffer
      - .actual_access:  read_only
        .address_space:  global
        .offset:         8
        .size:           8
        .value_kind:     global_buffer
      - .actual_access:  read_only
        .address_space:  global
        .offset:         16
        .size:           8
        .value_kind:     global_buffer
      - .actual_access:  read_only
        .address_space:  global
        .offset:         24
        .size:           8
        .value_kind:     global_buffer
      - .offset:         32
        .size:           4
        .value_kind:     by_value
      - .offset:         36
        .size:           4
        .value_kind:     by_value
      - .offset:         40
        .size:           4
        .value_kind:     by_value
      - .offset:         44
        .size:           4
        .value_kind:     by_value
      - .offset:         48
        .size:           4
        .value_kind:     by_value
      - .offset:         52
        .size:           4
        .value_kind:     by_value
      - .offset:         56
        .size:           4
        .value_kind:     by_value
      - .offset:         60
        .size:           4
        .value_kind:     by_value
      - .offset:         64
        .size:           4
        .value_kind:     by_value
      - .offset:         68
        .size:           4
        .value_kind:     by_value
      - .offset:         72
        .size:           4
        .value_kind:     by_value
      - .offset:         76
        .size:           4
        .value_kind:     by_value
      - .offset:         80
        .size:           4
        .value_kind:     by_value
      - .offset:         84
        .size:           4
        .value_kind:     by_value
      - .offset:         88
        .size:           4
        .value_kind:     by_value
      - .offset:         92
        .size:           4
        .value_kind:     by_value
      - .offset:         96
        .size:           4
        .value_kind:     hidden_block_count_x
      - .offset:         100
        .size:           4
        .value_kind:     hidden_block_count_y
      - .offset:         104
        .size:           4
        .value_kind:     hidden_block_count_z
      - .offset:         108
        .size:           2
        .value_kind:     hidden_group_size_x
      - .offset:         110
        .size:           2
        .value_kind:     hidden_group_size_y
      - .offset:         112
        .size:           2
        .value_kind:     hidden_group_size_z
      - .offset:         114
        .size:           2
        .value_kind:     hidden_remainder_x
      - .offset:         116
        .size:           2
        .value_kind:     hidden_remainder_y
      - .offset:         118
        .size:           2
        .value_kind:     hidden_remainder_z
      - .offset:         136
        .size:           8
        .value_kind:     hidden_global_offset_x
      - .offset:         144
        .size:           8
        .value_kind:     hidden_global_offset_y
      - .offset:         152
        .size:           8
        .value_kind:     hidden_global_offset_z
      - .offset:         160
        .size:           2
        .value_kind:     hidden_grid_dims
      - .offset:         176
        .size:           8
        .value_kind:     hidden_hostcall_buffer
    .group_segment_fixed_size: 0
    .kernarg_segment_align: 8
    .kernarg_segment_size: 352
    .language:       OpenCL C
    .language_version:
      - 2
      - 0
    .max_flat_workgroup_size: 320
    .name:           _ZL9mul_mat_fI7__half2Li32ELi3ELi5ELb1EEvPKT_PKfPKiPfiiiiiiiiiiiiiiii
    .private_segment_fixed_size: 16
    .sgpr_count:     38
    .sgpr_spill_count: 0
    .symbol:         _ZL9mul_mat_fI7__half2Li32ELi3ELi5ELb1EEvPKT_PKfPKiPfiiiiiiiiiiiiiiii.kd
    .uniform_work_group_size: 1
    .uses_dynamic_stack: false
    .vgpr_count:     38
    .vgpr_spill_count: 0
    .wavefront_size: 64
  - .args:
      - .actual_access:  read_only
        .address_space:  global
        .offset:         0
        .size:           8
        .value_kind:     global_buffer
      - .actual_access:  read_only
        .address_space:  global
        .offset:         8
        .size:           8
        .value_kind:     global_buffer
      - .actual_access:  read_only
        .address_space:  global
        .offset:         16
        .size:           8
        .value_kind:     global_buffer
      - .actual_access:  read_only
        .address_space:  global
        .offset:         24
        .size:           8
        .value_kind:     global_buffer
      - .offset:         32
        .size:           4
        .value_kind:     by_value
      - .offset:         36
        .size:           4
        .value_kind:     by_value
      - .offset:         40
        .size:           4
        .value_kind:     by_value
      - .offset:         44
        .size:           4
        .value_kind:     by_value
      - .offset:         48
        .size:           4
        .value_kind:     by_value
      - .offset:         52
        .size:           4
        .value_kind:     by_value
      - .offset:         56
        .size:           4
        .value_kind:     by_value
      - .offset:         60
        .size:           4
        .value_kind:     by_value
      - .offset:         64
        .size:           4
        .value_kind:     by_value
      - .offset:         68
        .size:           4
        .value_kind:     by_value
      - .offset:         72
        .size:           4
        .value_kind:     by_value
      - .offset:         76
        .size:           4
        .value_kind:     by_value
      - .offset:         80
        .size:           4
        .value_kind:     by_value
      - .offset:         84
        .size:           4
        .value_kind:     by_value
      - .offset:         88
        .size:           4
        .value_kind:     by_value
      - .offset:         92
        .size:           4
        .value_kind:     by_value
      - .offset:         96
        .size:           4
        .value_kind:     hidden_block_count_x
      - .offset:         100
        .size:           4
        .value_kind:     hidden_block_count_y
      - .offset:         104
        .size:           4
        .value_kind:     hidden_block_count_z
      - .offset:         108
        .size:           2
        .value_kind:     hidden_group_size_x
      - .offset:         110
        .size:           2
        .value_kind:     hidden_group_size_y
      - .offset:         112
        .size:           2
        .value_kind:     hidden_group_size_z
      - .offset:         114
        .size:           2
        .value_kind:     hidden_remainder_x
      - .offset:         116
        .size:           2
        .value_kind:     hidden_remainder_y
      - .offset:         118
        .size:           2
        .value_kind:     hidden_remainder_z
      - .offset:         136
        .size:           8
        .value_kind:     hidden_global_offset_x
      - .offset:         144
        .size:           8
        .value_kind:     hidden_global_offset_y
      - .offset:         152
        .size:           8
        .value_kind:     hidden_global_offset_z
      - .offset:         160
        .size:           2
        .value_kind:     hidden_grid_dims
      - .offset:         176
        .size:           8
        .value_kind:     hidden_hostcall_buffer
    .group_segment_fixed_size: 0
    .kernarg_segment_align: 8
    .kernarg_segment_size: 352
    .language:       OpenCL C
    .language_version:
      - 2
      - 0
    .max_flat_workgroup_size: 320
    .name:           _ZL9mul_mat_fI7__half2Li32ELi3ELi5ELb0EEvPKT_PKfPKiPfiiiiiiiiiiiiiiii
    .private_segment_fixed_size: 16
    .sgpr_count:     38
    .sgpr_spill_count: 0
    .symbol:         _ZL9mul_mat_fI7__half2Li32ELi3ELi5ELb0EEvPKT_PKfPKiPfiiiiiiiiiiiiiiii.kd
    .uniform_work_group_size: 1
    .uses_dynamic_stack: false
    .vgpr_count:     38
    .vgpr_spill_count: 0
    .wavefront_size: 64
  - .args:
      - .actual_access:  read_only
        .address_space:  global
        .offset:         0
        .size:           8
        .value_kind:     global_buffer
      - .actual_access:  read_only
        .address_space:  global
        .offset:         8
        .size:           8
        .value_kind:     global_buffer
      - .actual_access:  read_only
        .address_space:  global
        .offset:         16
        .size:           8
        .value_kind:     global_buffer
      - .actual_access:  read_only
        .address_space:  global
        .offset:         24
        .size:           8
        .value_kind:     global_buffer
      - .actual_access:  read_only
        .address_space:  global
        .offset:         32
        .size:           8
        .value_kind:     global_buffer
      - .actual_access:  read_only
        .address_space:  global
        .offset:         40
        .size:           8
        .value_kind:     global_buffer
      - .offset:         48
        .size:           4
        .value_kind:     by_value
      - .offset:         52
        .size:           4
        .value_kind:     by_value
      - .offset:         56
        .size:           4
        .value_kind:     by_value
      - .offset:         60
        .size:           4
        .value_kind:     by_value
      - .offset:         64
        .size:           4
        .value_kind:     by_value
      - .offset:         68
        .size:           4
        .value_kind:     by_value
      - .offset:         72
        .size:           4
        .value_kind:     by_value
      - .offset:         76
        .size:           4
        .value_kind:     by_value
      - .offset:         80
        .size:           4
        .value_kind:     by_value
      - .offset:         84
        .size:           4
        .value_kind:     by_value
      - .offset:         88
        .size:           4
        .value_kind:     by_value
      - .offset:         92
        .size:           4
        .value_kind:     by_value
      - .offset:         96
        .size:           4
        .value_kind:     by_value
      - .offset:         100
        .size:           4
        .value_kind:     by_value
      - .offset:         104
        .size:           12
        .value_kind:     by_value
      - .offset:         116
        .size:           12
        .value_kind:     by_value
      - .offset:         128
        .size:           4
        .value_kind:     hidden_block_count_x
      - .offset:         132
        .size:           4
        .value_kind:     hidden_block_count_y
      - .offset:         136
        .size:           4
        .value_kind:     hidden_block_count_z
      - .offset:         140
        .size:           2
        .value_kind:     hidden_group_size_x
      - .offset:         142
        .size:           2
        .value_kind:     hidden_group_size_y
      - .offset:         144
        .size:           2
        .value_kind:     hidden_group_size_z
      - .offset:         146
        .size:           2
        .value_kind:     hidden_remainder_x
      - .offset:         148
        .size:           2
        .value_kind:     hidden_remainder_y
      - .offset:         150
        .size:           2
        .value_kind:     hidden_remainder_z
      - .offset:         168
        .size:           8
        .value_kind:     hidden_global_offset_x
      - .offset:         176
        .size:           8
        .value_kind:     hidden_global_offset_y
      - .offset:         184
        .size:           8
        .value_kind:     hidden_global_offset_z
      - .offset:         192
        .size:           2
        .value_kind:     hidden_grid_dims
      - .offset:         208
        .size:           8
        .value_kind:     hidden_hostcall_buffer
    .group_segment_fixed_size: 0
    .kernarg_segment_align: 8
    .kernarg_segment_size: 384
    .language:       OpenCL C
    .language_version:
      - 2
      - 0
    .max_flat_workgroup_size: 384
    .name:           _ZL13mul_mat_f_idsI7__half2Li32ELi3ELi6EEvPKT_PKfPKiS7_S7_Pfiiiiiiiiiiiiii15HIP_vector_typeIjLj3EESA_
    .private_segment_fixed_size: 16
    .sgpr_count:     38
    .sgpr_spill_count: 0
    .symbol:         _ZL13mul_mat_f_idsI7__half2Li32ELi3ELi6EEvPKT_PKfPKiS7_S7_Pfiiiiiiiiiiiiii15HIP_vector_typeIjLj3EESA_.kd
    .uniform_work_group_size: 1
    .uses_dynamic_stack: false
    .vgpr_count:     38
    .vgpr_spill_count: 0
    .wavefront_size: 64
  - .args:
      - .actual_access:  read_only
        .address_space:  global
        .offset:         0
        .size:           8
        .value_kind:     global_buffer
      - .actual_access:  read_only
        .address_space:  global
        .offset:         8
        .size:           8
        .value_kind:     global_buffer
      - .actual_access:  read_only
        .address_space:  global
        .offset:         16
        .size:           8
        .value_kind:     global_buffer
      - .actual_access:  read_only
        .address_space:  global
        .offset:         24
        .size:           8
        .value_kind:     global_buffer
      - .offset:         32
        .size:           4
        .value_kind:     by_value
      - .offset:         36
        .size:           4
        .value_kind:     by_value
      - .offset:         40
        .size:           4
        .value_kind:     by_value
      - .offset:         44
        .size:           4
        .value_kind:     by_value
      - .offset:         48
        .size:           4
        .value_kind:     by_value
      - .offset:         52
        .size:           4
        .value_kind:     by_value
      - .offset:         56
        .size:           4
        .value_kind:     by_value
      - .offset:         60
        .size:           4
        .value_kind:     by_value
      - .offset:         64
        .size:           4
        .value_kind:     by_value
      - .offset:         68
        .size:           4
        .value_kind:     by_value
      - .offset:         72
        .size:           4
        .value_kind:     by_value
      - .offset:         76
        .size:           4
        .value_kind:     by_value
      - .offset:         80
        .size:           4
        .value_kind:     by_value
      - .offset:         84
        .size:           4
        .value_kind:     by_value
      - .offset:         88
        .size:           4
        .value_kind:     by_value
      - .offset:         92
        .size:           4
        .value_kind:     by_value
      - .offset:         96
        .size:           4
        .value_kind:     hidden_block_count_x
      - .offset:         100
        .size:           4
        .value_kind:     hidden_block_count_y
      - .offset:         104
        .size:           4
        .value_kind:     hidden_block_count_z
      - .offset:         108
        .size:           2
        .value_kind:     hidden_group_size_x
      - .offset:         110
        .size:           2
        .value_kind:     hidden_group_size_y
      - .offset:         112
        .size:           2
        .value_kind:     hidden_group_size_z
      - .offset:         114
        .size:           2
        .value_kind:     hidden_remainder_x
      - .offset:         116
        .size:           2
        .value_kind:     hidden_remainder_y
      - .offset:         118
        .size:           2
        .value_kind:     hidden_remainder_z
      - .offset:         136
        .size:           8
        .value_kind:     hidden_global_offset_x
      - .offset:         144
        .size:           8
        .value_kind:     hidden_global_offset_y
      - .offset:         152
        .size:           8
        .value_kind:     hidden_global_offset_z
      - .offset:         160
        .size:           2
        .value_kind:     hidden_grid_dims
      - .offset:         176
        .size:           8
        .value_kind:     hidden_hostcall_buffer
    .group_segment_fixed_size: 0
    .kernarg_segment_align: 8
    .kernarg_segment_size: 352
    .language:       OpenCL C
    .language_version:
      - 2
      - 0
    .max_flat_workgroup_size: 384
    .name:           _ZL9mul_mat_fI7__half2Li32ELi3ELi6ELb1EEvPKT_PKfPKiPfiiiiiiiiiiiiiiii
    .private_segment_fixed_size: 16
    .sgpr_count:     38
    .sgpr_spill_count: 0
    .symbol:         _ZL9mul_mat_fI7__half2Li32ELi3ELi6ELb1EEvPKT_PKfPKiPfiiiiiiiiiiiiiiii.kd
    .uniform_work_group_size: 1
    .uses_dynamic_stack: false
    .vgpr_count:     38
    .vgpr_spill_count: 0
    .wavefront_size: 64
  - .args:
      - .actual_access:  read_only
        .address_space:  global
        .offset:         0
        .size:           8
        .value_kind:     global_buffer
      - .actual_access:  read_only
        .address_space:  global
        .offset:         8
        .size:           8
        .value_kind:     global_buffer
      - .actual_access:  read_only
        .address_space:  global
        .offset:         16
        .size:           8
        .value_kind:     global_buffer
      - .actual_access:  read_only
        .address_space:  global
        .offset:         24
        .size:           8
        .value_kind:     global_buffer
      - .offset:         32
        .size:           4
        .value_kind:     by_value
      - .offset:         36
        .size:           4
        .value_kind:     by_value
      - .offset:         40
        .size:           4
        .value_kind:     by_value
      - .offset:         44
        .size:           4
        .value_kind:     by_value
      - .offset:         48
        .size:           4
        .value_kind:     by_value
      - .offset:         52
        .size:           4
        .value_kind:     by_value
      - .offset:         56
        .size:           4
        .value_kind:     by_value
      - .offset:         60
        .size:           4
        .value_kind:     by_value
      - .offset:         64
        .size:           4
        .value_kind:     by_value
      - .offset:         68
        .size:           4
        .value_kind:     by_value
      - .offset:         72
        .size:           4
        .value_kind:     by_value
      - .offset:         76
        .size:           4
        .value_kind:     by_value
      - .offset:         80
        .size:           4
        .value_kind:     by_value
      - .offset:         84
        .size:           4
        .value_kind:     by_value
      - .offset:         88
        .size:           4
        .value_kind:     by_value
      - .offset:         92
        .size:           4
        .value_kind:     by_value
      - .offset:         96
        .size:           4
        .value_kind:     hidden_block_count_x
      - .offset:         100
        .size:           4
        .value_kind:     hidden_block_count_y
      - .offset:         104
        .size:           4
        .value_kind:     hidden_block_count_z
      - .offset:         108
        .size:           2
        .value_kind:     hidden_group_size_x
      - .offset:         110
        .size:           2
        .value_kind:     hidden_group_size_y
      - .offset:         112
        .size:           2
        .value_kind:     hidden_group_size_z
      - .offset:         114
        .size:           2
        .value_kind:     hidden_remainder_x
      - .offset:         116
        .size:           2
        .value_kind:     hidden_remainder_y
      - .offset:         118
        .size:           2
        .value_kind:     hidden_remainder_z
      - .offset:         136
        .size:           8
        .value_kind:     hidden_global_offset_x
      - .offset:         144
        .size:           8
        .value_kind:     hidden_global_offset_y
      - .offset:         152
        .size:           8
        .value_kind:     hidden_global_offset_z
      - .offset:         160
        .size:           2
        .value_kind:     hidden_grid_dims
      - .offset:         176
        .size:           8
        .value_kind:     hidden_hostcall_buffer
    .group_segment_fixed_size: 0
    .kernarg_segment_align: 8
    .kernarg_segment_size: 352
    .language:       OpenCL C
    .language_version:
      - 2
      - 0
    .max_flat_workgroup_size: 384
    .name:           _ZL9mul_mat_fI7__half2Li32ELi3ELi6ELb0EEvPKT_PKfPKiPfiiiiiiiiiiiiiiii
    .private_segment_fixed_size: 16
    .sgpr_count:     38
    .sgpr_spill_count: 0
    .symbol:         _ZL9mul_mat_fI7__half2Li32ELi3ELi6ELb0EEvPKT_PKfPKiPfiiiiiiiiiiiiiiii.kd
    .uniform_work_group_size: 1
    .uses_dynamic_stack: false
    .vgpr_count:     38
    .vgpr_spill_count: 0
    .wavefront_size: 64
  - .args:
      - .actual_access:  read_only
        .address_space:  global
        .offset:         0
        .size:           8
        .value_kind:     global_buffer
      - .actual_access:  read_only
        .address_space:  global
        .offset:         8
        .size:           8
        .value_kind:     global_buffer
      - .actual_access:  read_only
        .address_space:  global
        .offset:         16
        .size:           8
        .value_kind:     global_buffer
      - .actual_access:  read_only
        .address_space:  global
        .offset:         24
        .size:           8
        .value_kind:     global_buffer
      - .actual_access:  read_only
        .address_space:  global
        .offset:         32
        .size:           8
        .value_kind:     global_buffer
      - .actual_access:  read_only
        .address_space:  global
        .offset:         40
        .size:           8
        .value_kind:     global_buffer
      - .offset:         48
        .size:           4
        .value_kind:     by_value
      - .offset:         52
        .size:           4
        .value_kind:     by_value
      - .offset:         56
        .size:           4
        .value_kind:     by_value
      - .offset:         60
        .size:           4
        .value_kind:     by_value
      - .offset:         64
        .size:           4
        .value_kind:     by_value
      - .offset:         68
        .size:           4
        .value_kind:     by_value
      - .offset:         72
        .size:           4
        .value_kind:     by_value
      - .offset:         76
        .size:           4
        .value_kind:     by_value
      - .offset:         80
        .size:           4
        .value_kind:     by_value
      - .offset:         84
        .size:           4
        .value_kind:     by_value
      - .offset:         88
        .size:           4
        .value_kind:     by_value
      - .offset:         92
        .size:           4
        .value_kind:     by_value
      - .offset:         96
        .size:           4
        .value_kind:     by_value
      - .offset:         100
        .size:           4
        .value_kind:     by_value
      - .offset:         104
        .size:           12
        .value_kind:     by_value
      - .offset:         116
        .size:           12
        .value_kind:     by_value
      - .offset:         128
        .size:           4
        .value_kind:     hidden_block_count_x
      - .offset:         132
        .size:           4
        .value_kind:     hidden_block_count_y
      - .offset:         136
        .size:           4
        .value_kind:     hidden_block_count_z
      - .offset:         140
        .size:           2
        .value_kind:     hidden_group_size_x
      - .offset:         142
        .size:           2
        .value_kind:     hidden_group_size_y
      - .offset:         144
        .size:           2
        .value_kind:     hidden_group_size_z
      - .offset:         146
        .size:           2
        .value_kind:     hidden_remainder_x
      - .offset:         148
        .size:           2
        .value_kind:     hidden_remainder_y
      - .offset:         150
        .size:           2
        .value_kind:     hidden_remainder_z
      - .offset:         168
        .size:           8
        .value_kind:     hidden_global_offset_x
      - .offset:         176
        .size:           8
        .value_kind:     hidden_global_offset_y
      - .offset:         184
        .size:           8
        .value_kind:     hidden_global_offset_z
      - .offset:         192
        .size:           2
        .value_kind:     hidden_grid_dims
      - .offset:         208
        .size:           8
        .value_kind:     hidden_hostcall_buffer
    .group_segment_fixed_size: 0
    .kernarg_segment_align: 8
    .kernarg_segment_size: 384
    .language:       OpenCL C
    .language_version:
      - 2
      - 0
    .max_flat_workgroup_size: 448
    .name:           _ZL13mul_mat_f_idsI7__half2Li32ELi3ELi7EEvPKT_PKfPKiS7_S7_Pfiiiiiiiiiiiiii15HIP_vector_typeIjLj3EESA_
    .private_segment_fixed_size: 16
    .sgpr_count:     38
    .sgpr_spill_count: 0
    .symbol:         _ZL13mul_mat_f_idsI7__half2Li32ELi3ELi7EEvPKT_PKfPKiS7_S7_Pfiiiiiiiiiiiiii15HIP_vector_typeIjLj3EESA_.kd
    .uniform_work_group_size: 1
    .uses_dynamic_stack: false
    .vgpr_count:     38
    .vgpr_spill_count: 0
    .wavefront_size: 64
  - .args:
      - .actual_access:  read_only
        .address_space:  global
        .offset:         0
        .size:           8
        .value_kind:     global_buffer
      - .actual_access:  read_only
        .address_space:  global
        .offset:         8
        .size:           8
        .value_kind:     global_buffer
      - .actual_access:  read_only
        .address_space:  global
        .offset:         16
        .size:           8
        .value_kind:     global_buffer
      - .actual_access:  read_only
        .address_space:  global
        .offset:         24
        .size:           8
        .value_kind:     global_buffer
      - .offset:         32
        .size:           4
        .value_kind:     by_value
      - .offset:         36
        .size:           4
        .value_kind:     by_value
      - .offset:         40
        .size:           4
        .value_kind:     by_value
      - .offset:         44
        .size:           4
        .value_kind:     by_value
      - .offset:         48
        .size:           4
        .value_kind:     by_value
      - .offset:         52
        .size:           4
        .value_kind:     by_value
      - .offset:         56
        .size:           4
        .value_kind:     by_value
      - .offset:         60
        .size:           4
        .value_kind:     by_value
      - .offset:         64
        .size:           4
        .value_kind:     by_value
      - .offset:         68
        .size:           4
        .value_kind:     by_value
      - .offset:         72
        .size:           4
        .value_kind:     by_value
      - .offset:         76
        .size:           4
        .value_kind:     by_value
      - .offset:         80
        .size:           4
        .value_kind:     by_value
      - .offset:         84
        .size:           4
        .value_kind:     by_value
      - .offset:         88
        .size:           4
        .value_kind:     by_value
      - .offset:         92
        .size:           4
        .value_kind:     by_value
      - .offset:         96
        .size:           4
        .value_kind:     hidden_block_count_x
      - .offset:         100
        .size:           4
        .value_kind:     hidden_block_count_y
      - .offset:         104
        .size:           4
        .value_kind:     hidden_block_count_z
      - .offset:         108
        .size:           2
        .value_kind:     hidden_group_size_x
      - .offset:         110
        .size:           2
        .value_kind:     hidden_group_size_y
      - .offset:         112
        .size:           2
        .value_kind:     hidden_group_size_z
      - .offset:         114
        .size:           2
        .value_kind:     hidden_remainder_x
      - .offset:         116
        .size:           2
        .value_kind:     hidden_remainder_y
      - .offset:         118
        .size:           2
        .value_kind:     hidden_remainder_z
      - .offset:         136
        .size:           8
        .value_kind:     hidden_global_offset_x
      - .offset:         144
        .size:           8
        .value_kind:     hidden_global_offset_y
      - .offset:         152
        .size:           8
        .value_kind:     hidden_global_offset_z
      - .offset:         160
        .size:           2
        .value_kind:     hidden_grid_dims
      - .offset:         176
        .size:           8
        .value_kind:     hidden_hostcall_buffer
    .group_segment_fixed_size: 0
    .kernarg_segment_align: 8
    .kernarg_segment_size: 352
    .language:       OpenCL C
    .language_version:
      - 2
      - 0
    .max_flat_workgroup_size: 448
    .name:           _ZL9mul_mat_fI7__half2Li32ELi3ELi7ELb1EEvPKT_PKfPKiPfiiiiiiiiiiiiiiii
    .private_segment_fixed_size: 16
    .sgpr_count:     38
    .sgpr_spill_count: 0
    .symbol:         _ZL9mul_mat_fI7__half2Li32ELi3ELi7ELb1EEvPKT_PKfPKiPfiiiiiiiiiiiiiiii.kd
    .uniform_work_group_size: 1
    .uses_dynamic_stack: false
    .vgpr_count:     38
    .vgpr_spill_count: 0
    .wavefront_size: 64
  - .args:
      - .actual_access:  read_only
        .address_space:  global
        .offset:         0
        .size:           8
        .value_kind:     global_buffer
      - .actual_access:  read_only
        .address_space:  global
        .offset:         8
        .size:           8
        .value_kind:     global_buffer
      - .actual_access:  read_only
        .address_space:  global
        .offset:         16
        .size:           8
        .value_kind:     global_buffer
      - .actual_access:  read_only
        .address_space:  global
        .offset:         24
        .size:           8
        .value_kind:     global_buffer
      - .offset:         32
        .size:           4
        .value_kind:     by_value
      - .offset:         36
        .size:           4
        .value_kind:     by_value
      - .offset:         40
        .size:           4
        .value_kind:     by_value
      - .offset:         44
        .size:           4
        .value_kind:     by_value
      - .offset:         48
        .size:           4
        .value_kind:     by_value
      - .offset:         52
        .size:           4
        .value_kind:     by_value
      - .offset:         56
        .size:           4
        .value_kind:     by_value
      - .offset:         60
        .size:           4
        .value_kind:     by_value
      - .offset:         64
        .size:           4
        .value_kind:     by_value
      - .offset:         68
        .size:           4
        .value_kind:     by_value
      - .offset:         72
        .size:           4
        .value_kind:     by_value
      - .offset:         76
        .size:           4
        .value_kind:     by_value
      - .offset:         80
        .size:           4
        .value_kind:     by_value
      - .offset:         84
        .size:           4
        .value_kind:     by_value
      - .offset:         88
        .size:           4
        .value_kind:     by_value
      - .offset:         92
        .size:           4
        .value_kind:     by_value
      - .offset:         96
        .size:           4
        .value_kind:     hidden_block_count_x
      - .offset:         100
        .size:           4
        .value_kind:     hidden_block_count_y
      - .offset:         104
        .size:           4
        .value_kind:     hidden_block_count_z
      - .offset:         108
        .size:           2
        .value_kind:     hidden_group_size_x
      - .offset:         110
        .size:           2
        .value_kind:     hidden_group_size_y
      - .offset:         112
        .size:           2
        .value_kind:     hidden_group_size_z
      - .offset:         114
        .size:           2
        .value_kind:     hidden_remainder_x
      - .offset:         116
        .size:           2
        .value_kind:     hidden_remainder_y
      - .offset:         118
        .size:           2
        .value_kind:     hidden_remainder_z
      - .offset:         136
        .size:           8
        .value_kind:     hidden_global_offset_x
      - .offset:         144
        .size:           8
        .value_kind:     hidden_global_offset_y
      - .offset:         152
        .size:           8
        .value_kind:     hidden_global_offset_z
      - .offset:         160
        .size:           2
        .value_kind:     hidden_grid_dims
      - .offset:         176
        .size:           8
        .value_kind:     hidden_hostcall_buffer
    .group_segment_fixed_size: 0
    .kernarg_segment_align: 8
    .kernarg_segment_size: 352
    .language:       OpenCL C
    .language_version:
      - 2
      - 0
    .max_flat_workgroup_size: 448
    .name:           _ZL9mul_mat_fI7__half2Li32ELi3ELi7ELb0EEvPKT_PKfPKiPfiiiiiiiiiiiiiiii
    .private_segment_fixed_size: 16
    .sgpr_count:     38
    .sgpr_spill_count: 0
    .symbol:         _ZL9mul_mat_fI7__half2Li32ELi3ELi7ELb0EEvPKT_PKfPKiPfiiiiiiiiiiiiiiii.kd
    .uniform_work_group_size: 1
    .uses_dynamic_stack: false
    .vgpr_count:     38
    .vgpr_spill_count: 0
    .wavefront_size: 64
  - .args:
      - .actual_access:  read_only
        .address_space:  global
        .offset:         0
        .size:           8
        .value_kind:     global_buffer
      - .actual_access:  read_only
        .address_space:  global
        .offset:         8
        .size:           8
        .value_kind:     global_buffer
      - .actual_access:  read_only
        .address_space:  global
        .offset:         16
        .size:           8
        .value_kind:     global_buffer
      - .actual_access:  read_only
        .address_space:  global
        .offset:         24
        .size:           8
        .value_kind:     global_buffer
      - .actual_access:  read_only
        .address_space:  global
        .offset:         32
        .size:           8
        .value_kind:     global_buffer
      - .actual_access:  read_only
        .address_space:  global
        .offset:         40
        .size:           8
        .value_kind:     global_buffer
      - .offset:         48
        .size:           4
        .value_kind:     by_value
      - .offset:         52
        .size:           4
        .value_kind:     by_value
      - .offset:         56
        .size:           4
        .value_kind:     by_value
      - .offset:         60
        .size:           4
        .value_kind:     by_value
      - .offset:         64
        .size:           4
        .value_kind:     by_value
      - .offset:         68
        .size:           4
        .value_kind:     by_value
      - .offset:         72
        .size:           4
        .value_kind:     by_value
      - .offset:         76
        .size:           4
        .value_kind:     by_value
      - .offset:         80
        .size:           4
        .value_kind:     by_value
      - .offset:         84
        .size:           4
        .value_kind:     by_value
      - .offset:         88
        .size:           4
        .value_kind:     by_value
      - .offset:         92
        .size:           4
        .value_kind:     by_value
      - .offset:         96
        .size:           4
        .value_kind:     by_value
      - .offset:         100
        .size:           4
        .value_kind:     by_value
      - .offset:         104
        .size:           12
        .value_kind:     by_value
      - .offset:         116
        .size:           12
        .value_kind:     by_value
      - .offset:         128
        .size:           4
        .value_kind:     hidden_block_count_x
      - .offset:         132
        .size:           4
        .value_kind:     hidden_block_count_y
      - .offset:         136
        .size:           4
        .value_kind:     hidden_block_count_z
      - .offset:         140
        .size:           2
        .value_kind:     hidden_group_size_x
      - .offset:         142
        .size:           2
        .value_kind:     hidden_group_size_y
      - .offset:         144
        .size:           2
        .value_kind:     hidden_group_size_z
      - .offset:         146
        .size:           2
        .value_kind:     hidden_remainder_x
      - .offset:         148
        .size:           2
        .value_kind:     hidden_remainder_y
      - .offset:         150
        .size:           2
        .value_kind:     hidden_remainder_z
      - .offset:         168
        .size:           8
        .value_kind:     hidden_global_offset_x
      - .offset:         176
        .size:           8
        .value_kind:     hidden_global_offset_y
      - .offset:         184
        .size:           8
        .value_kind:     hidden_global_offset_z
      - .offset:         192
        .size:           2
        .value_kind:     hidden_grid_dims
      - .offset:         208
        .size:           8
        .value_kind:     hidden_hostcall_buffer
    .group_segment_fixed_size: 0
    .kernarg_segment_align: 8
    .kernarg_segment_size: 384
    .language:       OpenCL C
    .language_version:
      - 2
      - 0
    .max_flat_workgroup_size: 512
    .name:           _ZL13mul_mat_f_idsI7__half2Li32ELi3ELi8EEvPKT_PKfPKiS7_S7_Pfiiiiiiiiiiiiii15HIP_vector_typeIjLj3EESA_
    .private_segment_fixed_size: 16
    .sgpr_count:     38
    .sgpr_spill_count: 0
    .symbol:         _ZL13mul_mat_f_idsI7__half2Li32ELi3ELi8EEvPKT_PKfPKiS7_S7_Pfiiiiiiiiiiiiii15HIP_vector_typeIjLj3EESA_.kd
    .uniform_work_group_size: 1
    .uses_dynamic_stack: false
    .vgpr_count:     38
    .vgpr_spill_count: 0
    .wavefront_size: 64
  - .args:
      - .actual_access:  read_only
        .address_space:  global
        .offset:         0
        .size:           8
        .value_kind:     global_buffer
      - .actual_access:  read_only
        .address_space:  global
        .offset:         8
        .size:           8
        .value_kind:     global_buffer
      - .actual_access:  read_only
        .address_space:  global
        .offset:         16
        .size:           8
        .value_kind:     global_buffer
      - .actual_access:  read_only
        .address_space:  global
        .offset:         24
        .size:           8
        .value_kind:     global_buffer
      - .offset:         32
        .size:           4
        .value_kind:     by_value
      - .offset:         36
        .size:           4
        .value_kind:     by_value
      - .offset:         40
        .size:           4
        .value_kind:     by_value
      - .offset:         44
        .size:           4
        .value_kind:     by_value
      - .offset:         48
        .size:           4
        .value_kind:     by_value
      - .offset:         52
        .size:           4
        .value_kind:     by_value
      - .offset:         56
        .size:           4
        .value_kind:     by_value
      - .offset:         60
        .size:           4
        .value_kind:     by_value
      - .offset:         64
        .size:           4
        .value_kind:     by_value
      - .offset:         68
        .size:           4
        .value_kind:     by_value
      - .offset:         72
        .size:           4
        .value_kind:     by_value
      - .offset:         76
        .size:           4
        .value_kind:     by_value
      - .offset:         80
        .size:           4
        .value_kind:     by_value
      - .offset:         84
        .size:           4
        .value_kind:     by_value
      - .offset:         88
        .size:           4
        .value_kind:     by_value
      - .offset:         92
        .size:           4
        .value_kind:     by_value
      - .offset:         96
        .size:           4
        .value_kind:     hidden_block_count_x
      - .offset:         100
        .size:           4
        .value_kind:     hidden_block_count_y
      - .offset:         104
        .size:           4
        .value_kind:     hidden_block_count_z
      - .offset:         108
        .size:           2
        .value_kind:     hidden_group_size_x
      - .offset:         110
        .size:           2
        .value_kind:     hidden_group_size_y
      - .offset:         112
        .size:           2
        .value_kind:     hidden_group_size_z
      - .offset:         114
        .size:           2
        .value_kind:     hidden_remainder_x
      - .offset:         116
        .size:           2
        .value_kind:     hidden_remainder_y
      - .offset:         118
        .size:           2
        .value_kind:     hidden_remainder_z
      - .offset:         136
        .size:           8
        .value_kind:     hidden_global_offset_x
      - .offset:         144
        .size:           8
        .value_kind:     hidden_global_offset_y
      - .offset:         152
        .size:           8
        .value_kind:     hidden_global_offset_z
      - .offset:         160
        .size:           2
        .value_kind:     hidden_grid_dims
      - .offset:         176
        .size:           8
        .value_kind:     hidden_hostcall_buffer
    .group_segment_fixed_size: 0
    .kernarg_segment_align: 8
    .kernarg_segment_size: 352
    .language:       OpenCL C
    .language_version:
      - 2
      - 0
    .max_flat_workgroup_size: 512
    .name:           _ZL9mul_mat_fI7__half2Li32ELi3ELi8ELb1EEvPKT_PKfPKiPfiiiiiiiiiiiiiiii
    .private_segment_fixed_size: 16
    .sgpr_count:     38
    .sgpr_spill_count: 0
    .symbol:         _ZL9mul_mat_fI7__half2Li32ELi3ELi8ELb1EEvPKT_PKfPKiPfiiiiiiiiiiiiiiii.kd
    .uniform_work_group_size: 1
    .uses_dynamic_stack: false
    .vgpr_count:     38
    .vgpr_spill_count: 0
    .wavefront_size: 64
  - .args:
      - .actual_access:  read_only
        .address_space:  global
        .offset:         0
        .size:           8
        .value_kind:     global_buffer
      - .actual_access:  read_only
        .address_space:  global
        .offset:         8
        .size:           8
        .value_kind:     global_buffer
      - .actual_access:  read_only
        .address_space:  global
        .offset:         16
        .size:           8
        .value_kind:     global_buffer
      - .actual_access:  read_only
        .address_space:  global
        .offset:         24
        .size:           8
        .value_kind:     global_buffer
      - .offset:         32
        .size:           4
        .value_kind:     by_value
      - .offset:         36
        .size:           4
        .value_kind:     by_value
      - .offset:         40
        .size:           4
        .value_kind:     by_value
      - .offset:         44
        .size:           4
        .value_kind:     by_value
      - .offset:         48
        .size:           4
        .value_kind:     by_value
      - .offset:         52
        .size:           4
        .value_kind:     by_value
      - .offset:         56
        .size:           4
        .value_kind:     by_value
      - .offset:         60
        .size:           4
        .value_kind:     by_value
      - .offset:         64
        .size:           4
        .value_kind:     by_value
      - .offset:         68
        .size:           4
        .value_kind:     by_value
      - .offset:         72
        .size:           4
        .value_kind:     by_value
      - .offset:         76
        .size:           4
        .value_kind:     by_value
      - .offset:         80
        .size:           4
        .value_kind:     by_value
      - .offset:         84
        .size:           4
        .value_kind:     by_value
      - .offset:         88
        .size:           4
        .value_kind:     by_value
      - .offset:         92
        .size:           4
        .value_kind:     by_value
      - .offset:         96
        .size:           4
        .value_kind:     hidden_block_count_x
      - .offset:         100
        .size:           4
        .value_kind:     hidden_block_count_y
      - .offset:         104
        .size:           4
        .value_kind:     hidden_block_count_z
      - .offset:         108
        .size:           2
        .value_kind:     hidden_group_size_x
      - .offset:         110
        .size:           2
        .value_kind:     hidden_group_size_y
      - .offset:         112
        .size:           2
        .value_kind:     hidden_group_size_z
      - .offset:         114
        .size:           2
        .value_kind:     hidden_remainder_x
      - .offset:         116
        .size:           2
        .value_kind:     hidden_remainder_y
      - .offset:         118
        .size:           2
        .value_kind:     hidden_remainder_z
      - .offset:         136
        .size:           8
        .value_kind:     hidden_global_offset_x
      - .offset:         144
        .size:           8
        .value_kind:     hidden_global_offset_y
      - .offset:         152
        .size:           8
        .value_kind:     hidden_global_offset_z
      - .offset:         160
        .size:           2
        .value_kind:     hidden_grid_dims
      - .offset:         176
        .size:           8
        .value_kind:     hidden_hostcall_buffer
    .group_segment_fixed_size: 0
    .kernarg_segment_align: 8
    .kernarg_segment_size: 352
    .language:       OpenCL C
    .language_version:
      - 2
      - 0
    .max_flat_workgroup_size: 512
    .name:           _ZL9mul_mat_fI7__half2Li32ELi3ELi8ELb0EEvPKT_PKfPKiPfiiiiiiiiiiiiiiii
    .private_segment_fixed_size: 16
    .sgpr_count:     38
    .sgpr_spill_count: 0
    .symbol:         _ZL9mul_mat_fI7__half2Li32ELi3ELi8ELb0EEvPKT_PKfPKiPfiiiiiiiiiiiiiiii.kd
    .uniform_work_group_size: 1
    .uses_dynamic_stack: false
    .vgpr_count:     38
    .vgpr_spill_count: 0
    .wavefront_size: 64
  - .args:
      - .actual_access:  read_only
        .address_space:  global
        .offset:         0
        .size:           8
        .value_kind:     global_buffer
      - .actual_access:  read_only
        .address_space:  global
        .offset:         8
        .size:           8
        .value_kind:     global_buffer
      - .actual_access:  read_only
        .address_space:  global
        .offset:         16
        .size:           8
        .value_kind:     global_buffer
      - .actual_access:  read_only
        .address_space:  global
        .offset:         24
        .size:           8
        .value_kind:     global_buffer
      - .actual_access:  read_only
        .address_space:  global
        .offset:         32
        .size:           8
        .value_kind:     global_buffer
      - .actual_access:  read_only
        .address_space:  global
        .offset:         40
        .size:           8
        .value_kind:     global_buffer
      - .offset:         48
        .size:           4
        .value_kind:     by_value
      - .offset:         52
        .size:           4
        .value_kind:     by_value
      - .offset:         56
        .size:           4
        .value_kind:     by_value
      - .offset:         60
        .size:           4
        .value_kind:     by_value
      - .offset:         64
        .size:           4
        .value_kind:     by_value
      - .offset:         68
        .size:           4
        .value_kind:     by_value
      - .offset:         72
        .size:           4
        .value_kind:     by_value
      - .offset:         76
        .size:           4
        .value_kind:     by_value
      - .offset:         80
        .size:           4
        .value_kind:     by_value
      - .offset:         84
        .size:           4
        .value_kind:     by_value
      - .offset:         88
        .size:           4
        .value_kind:     by_value
      - .offset:         92
        .size:           4
        .value_kind:     by_value
      - .offset:         96
        .size:           4
        .value_kind:     by_value
      - .offset:         100
        .size:           4
        .value_kind:     by_value
      - .offset:         104
        .size:           12
        .value_kind:     by_value
      - .offset:         116
        .size:           12
        .value_kind:     by_value
      - .offset:         128
        .size:           4
        .value_kind:     hidden_block_count_x
      - .offset:         132
        .size:           4
        .value_kind:     hidden_block_count_y
      - .offset:         136
        .size:           4
        .value_kind:     hidden_block_count_z
      - .offset:         140
        .size:           2
        .value_kind:     hidden_group_size_x
      - .offset:         142
        .size:           2
        .value_kind:     hidden_group_size_y
      - .offset:         144
        .size:           2
        .value_kind:     hidden_group_size_z
      - .offset:         146
        .size:           2
        .value_kind:     hidden_remainder_x
      - .offset:         148
        .size:           2
        .value_kind:     hidden_remainder_y
      - .offset:         150
        .size:           2
        .value_kind:     hidden_remainder_z
      - .offset:         168
        .size:           8
        .value_kind:     hidden_global_offset_x
      - .offset:         176
        .size:           8
        .value_kind:     hidden_global_offset_y
      - .offset:         184
        .size:           8
        .value_kind:     hidden_global_offset_z
      - .offset:         192
        .size:           2
        .value_kind:     hidden_grid_dims
      - .offset:         208
        .size:           8
        .value_kind:     hidden_hostcall_buffer
    .group_segment_fixed_size: 0
    .kernarg_segment_align: 8
    .kernarg_segment_size: 384
    .language:       OpenCL C
    .language_version:
      - 2
      - 0
    .max_flat_workgroup_size: 64
    .name:           _ZL13mul_mat_f_idsI15__hip_bfloat162Li32ELi3ELi1EEvPKT_PKfPKiS7_S7_Pfiiiiiiiiiiiiii15HIP_vector_typeIjLj3EESA_
    .private_segment_fixed_size: 16
    .sgpr_count:     38
    .sgpr_spill_count: 0
    .symbol:         _ZL13mul_mat_f_idsI15__hip_bfloat162Li32ELi3ELi1EEvPKT_PKfPKiS7_S7_Pfiiiiiiiiiiiiii15HIP_vector_typeIjLj3EESA_.kd
    .uniform_work_group_size: 1
    .uses_dynamic_stack: false
    .vgpr_count:     38
    .vgpr_spill_count: 0
    .wavefront_size: 64
  - .args:
      - .actual_access:  read_only
        .address_space:  global
        .offset:         0
        .size:           8
        .value_kind:     global_buffer
      - .actual_access:  read_only
        .address_space:  global
        .offset:         8
        .size:           8
        .value_kind:     global_buffer
      - .actual_access:  read_only
        .address_space:  global
        .offset:         16
        .size:           8
        .value_kind:     global_buffer
      - .actual_access:  read_only
        .address_space:  global
        .offset:         24
        .size:           8
        .value_kind:     global_buffer
      - .offset:         32
        .size:           4
        .value_kind:     by_value
      - .offset:         36
        .size:           4
        .value_kind:     by_value
      - .offset:         40
        .size:           4
        .value_kind:     by_value
      - .offset:         44
        .size:           4
        .value_kind:     by_value
      - .offset:         48
        .size:           4
        .value_kind:     by_value
      - .offset:         52
        .size:           4
        .value_kind:     by_value
      - .offset:         56
        .size:           4
        .value_kind:     by_value
      - .offset:         60
        .size:           4
        .value_kind:     by_value
      - .offset:         64
        .size:           4
        .value_kind:     by_value
      - .offset:         68
        .size:           4
        .value_kind:     by_value
      - .offset:         72
        .size:           4
        .value_kind:     by_value
      - .offset:         76
        .size:           4
        .value_kind:     by_value
      - .offset:         80
        .size:           4
        .value_kind:     by_value
      - .offset:         84
        .size:           4
        .value_kind:     by_value
      - .offset:         88
        .size:           4
        .value_kind:     by_value
      - .offset:         92
        .size:           4
        .value_kind:     by_value
      - .offset:         96
        .size:           4
        .value_kind:     hidden_block_count_x
      - .offset:         100
        .size:           4
        .value_kind:     hidden_block_count_y
      - .offset:         104
        .size:           4
        .value_kind:     hidden_block_count_z
      - .offset:         108
        .size:           2
        .value_kind:     hidden_group_size_x
      - .offset:         110
        .size:           2
        .value_kind:     hidden_group_size_y
      - .offset:         112
        .size:           2
        .value_kind:     hidden_group_size_z
      - .offset:         114
        .size:           2
        .value_kind:     hidden_remainder_x
      - .offset:         116
        .size:           2
        .value_kind:     hidden_remainder_y
      - .offset:         118
        .size:           2
        .value_kind:     hidden_remainder_z
      - .offset:         136
        .size:           8
        .value_kind:     hidden_global_offset_x
      - .offset:         144
        .size:           8
        .value_kind:     hidden_global_offset_y
      - .offset:         152
        .size:           8
        .value_kind:     hidden_global_offset_z
      - .offset:         160
        .size:           2
        .value_kind:     hidden_grid_dims
      - .offset:         176
        .size:           8
        .value_kind:     hidden_hostcall_buffer
    .group_segment_fixed_size: 0
    .kernarg_segment_align: 8
    .kernarg_segment_size: 352
    .language:       OpenCL C
    .language_version:
      - 2
      - 0
    .max_flat_workgroup_size: 64
    .name:           _ZL9mul_mat_fI15__hip_bfloat162Li32ELi3ELi1ELb1EEvPKT_PKfPKiPfiiiiiiiiiiiiiiii
    .private_segment_fixed_size: 16
    .sgpr_count:     38
    .sgpr_spill_count: 0
    .symbol:         _ZL9mul_mat_fI15__hip_bfloat162Li32ELi3ELi1ELb1EEvPKT_PKfPKiPfiiiiiiiiiiiiiiii.kd
    .uniform_work_group_size: 1
    .uses_dynamic_stack: false
    .vgpr_count:     38
    .vgpr_spill_count: 0
    .wavefront_size: 64
  - .args:
      - .actual_access:  read_only
        .address_space:  global
        .offset:         0
        .size:           8
        .value_kind:     global_buffer
      - .actual_access:  read_only
        .address_space:  global
        .offset:         8
        .size:           8
        .value_kind:     global_buffer
      - .actual_access:  read_only
        .address_space:  global
        .offset:         16
        .size:           8
        .value_kind:     global_buffer
      - .actual_access:  read_only
        .address_space:  global
        .offset:         24
        .size:           8
        .value_kind:     global_buffer
      - .offset:         32
        .size:           4
        .value_kind:     by_value
      - .offset:         36
        .size:           4
        .value_kind:     by_value
      - .offset:         40
        .size:           4
        .value_kind:     by_value
      - .offset:         44
        .size:           4
        .value_kind:     by_value
      - .offset:         48
        .size:           4
        .value_kind:     by_value
      - .offset:         52
        .size:           4
        .value_kind:     by_value
      - .offset:         56
        .size:           4
        .value_kind:     by_value
      - .offset:         60
        .size:           4
        .value_kind:     by_value
      - .offset:         64
        .size:           4
        .value_kind:     by_value
      - .offset:         68
        .size:           4
        .value_kind:     by_value
      - .offset:         72
        .size:           4
        .value_kind:     by_value
      - .offset:         76
        .size:           4
        .value_kind:     by_value
      - .offset:         80
        .size:           4
        .value_kind:     by_value
      - .offset:         84
        .size:           4
        .value_kind:     by_value
      - .offset:         88
        .size:           4
        .value_kind:     by_value
      - .offset:         92
        .size:           4
        .value_kind:     by_value
      - .offset:         96
        .size:           4
        .value_kind:     hidden_block_count_x
      - .offset:         100
        .size:           4
        .value_kind:     hidden_block_count_y
      - .offset:         104
        .size:           4
        .value_kind:     hidden_block_count_z
      - .offset:         108
        .size:           2
        .value_kind:     hidden_group_size_x
      - .offset:         110
        .size:           2
        .value_kind:     hidden_group_size_y
      - .offset:         112
        .size:           2
        .value_kind:     hidden_group_size_z
      - .offset:         114
        .size:           2
        .value_kind:     hidden_remainder_x
      - .offset:         116
        .size:           2
        .value_kind:     hidden_remainder_y
      - .offset:         118
        .size:           2
        .value_kind:     hidden_remainder_z
      - .offset:         136
        .size:           8
        .value_kind:     hidden_global_offset_x
      - .offset:         144
        .size:           8
        .value_kind:     hidden_global_offset_y
      - .offset:         152
        .size:           8
        .value_kind:     hidden_global_offset_z
      - .offset:         160
        .size:           2
        .value_kind:     hidden_grid_dims
      - .offset:         176
        .size:           8
        .value_kind:     hidden_hostcall_buffer
    .group_segment_fixed_size: 0
    .kernarg_segment_align: 8
    .kernarg_segment_size: 352
    .language:       OpenCL C
    .language_version:
      - 2
      - 0
    .max_flat_workgroup_size: 64
    .name:           _ZL9mul_mat_fI15__hip_bfloat162Li32ELi3ELi1ELb0EEvPKT_PKfPKiPfiiiiiiiiiiiiiiii
    .private_segment_fixed_size: 16
    .sgpr_count:     38
    .sgpr_spill_count: 0
    .symbol:         _ZL9mul_mat_fI15__hip_bfloat162Li32ELi3ELi1ELb0EEvPKT_PKfPKiPfiiiiiiiiiiiiiiii.kd
    .uniform_work_group_size: 1
    .uses_dynamic_stack: false
    .vgpr_count:     38
    .vgpr_spill_count: 0
    .wavefront_size: 64
  - .args:
      - .actual_access:  read_only
        .address_space:  global
        .offset:         0
        .size:           8
        .value_kind:     global_buffer
      - .actual_access:  read_only
        .address_space:  global
        .offset:         8
        .size:           8
        .value_kind:     global_buffer
      - .actual_access:  read_only
        .address_space:  global
        .offset:         16
        .size:           8
        .value_kind:     global_buffer
      - .actual_access:  read_only
        .address_space:  global
        .offset:         24
        .size:           8
        .value_kind:     global_buffer
      - .actual_access:  read_only
        .address_space:  global
        .offset:         32
        .size:           8
        .value_kind:     global_buffer
      - .actual_access:  read_only
        .address_space:  global
        .offset:         40
        .size:           8
        .value_kind:     global_buffer
      - .offset:         48
        .size:           4
        .value_kind:     by_value
      - .offset:         52
        .size:           4
        .value_kind:     by_value
      - .offset:         56
        .size:           4
        .value_kind:     by_value
      - .offset:         60
        .size:           4
        .value_kind:     by_value
      - .offset:         64
        .size:           4
        .value_kind:     by_value
      - .offset:         68
        .size:           4
        .value_kind:     by_value
      - .offset:         72
        .size:           4
        .value_kind:     by_value
      - .offset:         76
        .size:           4
        .value_kind:     by_value
      - .offset:         80
        .size:           4
        .value_kind:     by_value
      - .offset:         84
        .size:           4
        .value_kind:     by_value
      - .offset:         88
        .size:           4
        .value_kind:     by_value
      - .offset:         92
        .size:           4
        .value_kind:     by_value
      - .offset:         96
        .size:           4
        .value_kind:     by_value
      - .offset:         100
        .size:           4
        .value_kind:     by_value
      - .offset:         104
        .size:           12
        .value_kind:     by_value
      - .offset:         116
        .size:           12
        .value_kind:     by_value
      - .offset:         128
        .size:           4
        .value_kind:     hidden_block_count_x
      - .offset:         132
        .size:           4
        .value_kind:     hidden_block_count_y
      - .offset:         136
        .size:           4
        .value_kind:     hidden_block_count_z
      - .offset:         140
        .size:           2
        .value_kind:     hidden_group_size_x
      - .offset:         142
        .size:           2
        .value_kind:     hidden_group_size_y
      - .offset:         144
        .size:           2
        .value_kind:     hidden_group_size_z
      - .offset:         146
        .size:           2
        .value_kind:     hidden_remainder_x
      - .offset:         148
        .size:           2
        .value_kind:     hidden_remainder_y
      - .offset:         150
        .size:           2
        .value_kind:     hidden_remainder_z
      - .offset:         168
        .size:           8
        .value_kind:     hidden_global_offset_x
      - .offset:         176
        .size:           8
        .value_kind:     hidden_global_offset_y
      - .offset:         184
        .size:           8
        .value_kind:     hidden_global_offset_z
      - .offset:         192
        .size:           2
        .value_kind:     hidden_grid_dims
      - .offset:         208
        .size:           8
        .value_kind:     hidden_hostcall_buffer
    .group_segment_fixed_size: 0
    .kernarg_segment_align: 8
    .kernarg_segment_size: 384
    .language:       OpenCL C
    .language_version:
      - 2
      - 0
    .max_flat_workgroup_size: 128
    .name:           _ZL13mul_mat_f_idsI15__hip_bfloat162Li32ELi3ELi2EEvPKT_PKfPKiS7_S7_Pfiiiiiiiiiiiiii15HIP_vector_typeIjLj3EESA_
    .private_segment_fixed_size: 16
    .sgpr_count:     38
    .sgpr_spill_count: 0
    .symbol:         _ZL13mul_mat_f_idsI15__hip_bfloat162Li32ELi3ELi2EEvPKT_PKfPKiS7_S7_Pfiiiiiiiiiiiiii15HIP_vector_typeIjLj3EESA_.kd
    .uniform_work_group_size: 1
    .uses_dynamic_stack: false
    .vgpr_count:     38
    .vgpr_spill_count: 0
    .wavefront_size: 64
  - .args:
      - .actual_access:  read_only
        .address_space:  global
        .offset:         0
        .size:           8
        .value_kind:     global_buffer
      - .actual_access:  read_only
        .address_space:  global
        .offset:         8
        .size:           8
        .value_kind:     global_buffer
      - .actual_access:  read_only
        .address_space:  global
        .offset:         16
        .size:           8
        .value_kind:     global_buffer
      - .actual_access:  read_only
        .address_space:  global
        .offset:         24
        .size:           8
        .value_kind:     global_buffer
      - .offset:         32
        .size:           4
        .value_kind:     by_value
      - .offset:         36
        .size:           4
        .value_kind:     by_value
      - .offset:         40
        .size:           4
        .value_kind:     by_value
      - .offset:         44
        .size:           4
        .value_kind:     by_value
      - .offset:         48
        .size:           4
        .value_kind:     by_value
      - .offset:         52
        .size:           4
        .value_kind:     by_value
      - .offset:         56
        .size:           4
        .value_kind:     by_value
      - .offset:         60
        .size:           4
        .value_kind:     by_value
      - .offset:         64
        .size:           4
        .value_kind:     by_value
      - .offset:         68
        .size:           4
        .value_kind:     by_value
      - .offset:         72
        .size:           4
        .value_kind:     by_value
      - .offset:         76
        .size:           4
        .value_kind:     by_value
      - .offset:         80
        .size:           4
        .value_kind:     by_value
      - .offset:         84
        .size:           4
        .value_kind:     by_value
      - .offset:         88
        .size:           4
        .value_kind:     by_value
      - .offset:         92
        .size:           4
        .value_kind:     by_value
      - .offset:         96
        .size:           4
        .value_kind:     hidden_block_count_x
      - .offset:         100
        .size:           4
        .value_kind:     hidden_block_count_y
      - .offset:         104
        .size:           4
        .value_kind:     hidden_block_count_z
      - .offset:         108
        .size:           2
        .value_kind:     hidden_group_size_x
      - .offset:         110
        .size:           2
        .value_kind:     hidden_group_size_y
      - .offset:         112
        .size:           2
        .value_kind:     hidden_group_size_z
      - .offset:         114
        .size:           2
        .value_kind:     hidden_remainder_x
      - .offset:         116
        .size:           2
        .value_kind:     hidden_remainder_y
      - .offset:         118
        .size:           2
        .value_kind:     hidden_remainder_z
      - .offset:         136
        .size:           8
        .value_kind:     hidden_global_offset_x
      - .offset:         144
        .size:           8
        .value_kind:     hidden_global_offset_y
      - .offset:         152
        .size:           8
        .value_kind:     hidden_global_offset_z
      - .offset:         160
        .size:           2
        .value_kind:     hidden_grid_dims
      - .offset:         176
        .size:           8
        .value_kind:     hidden_hostcall_buffer
    .group_segment_fixed_size: 0
    .kernarg_segment_align: 8
    .kernarg_segment_size: 352
    .language:       OpenCL C
    .language_version:
      - 2
      - 0
    .max_flat_workgroup_size: 128
    .name:           _ZL9mul_mat_fI15__hip_bfloat162Li32ELi3ELi2ELb1EEvPKT_PKfPKiPfiiiiiiiiiiiiiiii
    .private_segment_fixed_size: 16
    .sgpr_count:     38
    .sgpr_spill_count: 0
    .symbol:         _ZL9mul_mat_fI15__hip_bfloat162Li32ELi3ELi2ELb1EEvPKT_PKfPKiPfiiiiiiiiiiiiiiii.kd
    .uniform_work_group_size: 1
    .uses_dynamic_stack: false
    .vgpr_count:     38
    .vgpr_spill_count: 0
    .wavefront_size: 64
  - .args:
      - .actual_access:  read_only
        .address_space:  global
        .offset:         0
        .size:           8
        .value_kind:     global_buffer
      - .actual_access:  read_only
        .address_space:  global
        .offset:         8
        .size:           8
        .value_kind:     global_buffer
      - .actual_access:  read_only
        .address_space:  global
        .offset:         16
        .size:           8
        .value_kind:     global_buffer
      - .actual_access:  read_only
        .address_space:  global
        .offset:         24
        .size:           8
        .value_kind:     global_buffer
      - .offset:         32
        .size:           4
        .value_kind:     by_value
      - .offset:         36
        .size:           4
        .value_kind:     by_value
      - .offset:         40
        .size:           4
        .value_kind:     by_value
      - .offset:         44
        .size:           4
        .value_kind:     by_value
      - .offset:         48
        .size:           4
        .value_kind:     by_value
      - .offset:         52
        .size:           4
        .value_kind:     by_value
      - .offset:         56
        .size:           4
        .value_kind:     by_value
      - .offset:         60
        .size:           4
        .value_kind:     by_value
      - .offset:         64
        .size:           4
        .value_kind:     by_value
      - .offset:         68
        .size:           4
        .value_kind:     by_value
      - .offset:         72
        .size:           4
        .value_kind:     by_value
      - .offset:         76
        .size:           4
        .value_kind:     by_value
      - .offset:         80
        .size:           4
        .value_kind:     by_value
      - .offset:         84
        .size:           4
        .value_kind:     by_value
      - .offset:         88
        .size:           4
        .value_kind:     by_value
      - .offset:         92
        .size:           4
        .value_kind:     by_value
      - .offset:         96
        .size:           4
        .value_kind:     hidden_block_count_x
      - .offset:         100
        .size:           4
        .value_kind:     hidden_block_count_y
      - .offset:         104
        .size:           4
        .value_kind:     hidden_block_count_z
      - .offset:         108
        .size:           2
        .value_kind:     hidden_group_size_x
      - .offset:         110
        .size:           2
        .value_kind:     hidden_group_size_y
      - .offset:         112
        .size:           2
        .value_kind:     hidden_group_size_z
      - .offset:         114
        .size:           2
        .value_kind:     hidden_remainder_x
      - .offset:         116
        .size:           2
        .value_kind:     hidden_remainder_y
      - .offset:         118
        .size:           2
        .value_kind:     hidden_remainder_z
      - .offset:         136
        .size:           8
        .value_kind:     hidden_global_offset_x
      - .offset:         144
        .size:           8
        .value_kind:     hidden_global_offset_y
      - .offset:         152
        .size:           8
        .value_kind:     hidden_global_offset_z
      - .offset:         160
        .size:           2
        .value_kind:     hidden_grid_dims
      - .offset:         176
        .size:           8
        .value_kind:     hidden_hostcall_buffer
    .group_segment_fixed_size: 0
    .kernarg_segment_align: 8
    .kernarg_segment_size: 352
    .language:       OpenCL C
    .language_version:
      - 2
      - 0
    .max_flat_workgroup_size: 128
    .name:           _ZL9mul_mat_fI15__hip_bfloat162Li32ELi3ELi2ELb0EEvPKT_PKfPKiPfiiiiiiiiiiiiiiii
    .private_segment_fixed_size: 16
    .sgpr_count:     38
    .sgpr_spill_count: 0
    .symbol:         _ZL9mul_mat_fI15__hip_bfloat162Li32ELi3ELi2ELb0EEvPKT_PKfPKiPfiiiiiiiiiiiiiiii.kd
    .uniform_work_group_size: 1
    .uses_dynamic_stack: false
    .vgpr_count:     38
    .vgpr_spill_count: 0
    .wavefront_size: 64
  - .args:
      - .actual_access:  read_only
        .address_space:  global
        .offset:         0
        .size:           8
        .value_kind:     global_buffer
      - .actual_access:  read_only
        .address_space:  global
        .offset:         8
        .size:           8
        .value_kind:     global_buffer
      - .actual_access:  read_only
        .address_space:  global
        .offset:         16
        .size:           8
        .value_kind:     global_buffer
      - .actual_access:  read_only
        .address_space:  global
        .offset:         24
        .size:           8
        .value_kind:     global_buffer
      - .actual_access:  read_only
        .address_space:  global
        .offset:         32
        .size:           8
        .value_kind:     global_buffer
      - .actual_access:  read_only
        .address_space:  global
        .offset:         40
        .size:           8
        .value_kind:     global_buffer
      - .offset:         48
        .size:           4
        .value_kind:     by_value
      - .offset:         52
        .size:           4
        .value_kind:     by_value
      - .offset:         56
        .size:           4
        .value_kind:     by_value
      - .offset:         60
        .size:           4
        .value_kind:     by_value
      - .offset:         64
        .size:           4
        .value_kind:     by_value
      - .offset:         68
        .size:           4
        .value_kind:     by_value
      - .offset:         72
        .size:           4
        .value_kind:     by_value
      - .offset:         76
        .size:           4
        .value_kind:     by_value
      - .offset:         80
        .size:           4
        .value_kind:     by_value
      - .offset:         84
        .size:           4
        .value_kind:     by_value
      - .offset:         88
        .size:           4
        .value_kind:     by_value
      - .offset:         92
        .size:           4
        .value_kind:     by_value
      - .offset:         96
        .size:           4
        .value_kind:     by_value
      - .offset:         100
        .size:           4
        .value_kind:     by_value
      - .offset:         104
        .size:           12
        .value_kind:     by_value
      - .offset:         116
        .size:           12
        .value_kind:     by_value
      - .offset:         128
        .size:           4
        .value_kind:     hidden_block_count_x
      - .offset:         132
        .size:           4
        .value_kind:     hidden_block_count_y
      - .offset:         136
        .size:           4
        .value_kind:     hidden_block_count_z
      - .offset:         140
        .size:           2
        .value_kind:     hidden_group_size_x
      - .offset:         142
        .size:           2
        .value_kind:     hidden_group_size_y
      - .offset:         144
        .size:           2
        .value_kind:     hidden_group_size_z
      - .offset:         146
        .size:           2
        .value_kind:     hidden_remainder_x
      - .offset:         148
        .size:           2
        .value_kind:     hidden_remainder_y
      - .offset:         150
        .size:           2
        .value_kind:     hidden_remainder_z
      - .offset:         168
        .size:           8
        .value_kind:     hidden_global_offset_x
      - .offset:         176
        .size:           8
        .value_kind:     hidden_global_offset_y
      - .offset:         184
        .size:           8
        .value_kind:     hidden_global_offset_z
      - .offset:         192
        .size:           2
        .value_kind:     hidden_grid_dims
      - .offset:         208
        .size:           8
        .value_kind:     hidden_hostcall_buffer
    .group_segment_fixed_size: 0
    .kernarg_segment_align: 8
    .kernarg_segment_size: 384
    .language:       OpenCL C
    .language_version:
      - 2
      - 0
    .max_flat_workgroup_size: 192
    .name:           _ZL13mul_mat_f_idsI15__hip_bfloat162Li32ELi3ELi3EEvPKT_PKfPKiS7_S7_Pfiiiiiiiiiiiiii15HIP_vector_typeIjLj3EESA_
    .private_segment_fixed_size: 16
    .sgpr_count:     38
    .sgpr_spill_count: 0
    .symbol:         _ZL13mul_mat_f_idsI15__hip_bfloat162Li32ELi3ELi3EEvPKT_PKfPKiS7_S7_Pfiiiiiiiiiiiiii15HIP_vector_typeIjLj3EESA_.kd
    .uniform_work_group_size: 1
    .uses_dynamic_stack: false
    .vgpr_count:     38
    .vgpr_spill_count: 0
    .wavefront_size: 64
  - .args:
      - .actual_access:  read_only
        .address_space:  global
        .offset:         0
        .size:           8
        .value_kind:     global_buffer
      - .actual_access:  read_only
        .address_space:  global
        .offset:         8
        .size:           8
        .value_kind:     global_buffer
      - .actual_access:  read_only
        .address_space:  global
        .offset:         16
        .size:           8
        .value_kind:     global_buffer
      - .actual_access:  read_only
        .address_space:  global
        .offset:         24
        .size:           8
        .value_kind:     global_buffer
      - .offset:         32
        .size:           4
        .value_kind:     by_value
      - .offset:         36
        .size:           4
        .value_kind:     by_value
      - .offset:         40
        .size:           4
        .value_kind:     by_value
      - .offset:         44
        .size:           4
        .value_kind:     by_value
      - .offset:         48
        .size:           4
        .value_kind:     by_value
      - .offset:         52
        .size:           4
        .value_kind:     by_value
      - .offset:         56
        .size:           4
        .value_kind:     by_value
      - .offset:         60
        .size:           4
        .value_kind:     by_value
      - .offset:         64
        .size:           4
        .value_kind:     by_value
      - .offset:         68
        .size:           4
        .value_kind:     by_value
      - .offset:         72
        .size:           4
        .value_kind:     by_value
      - .offset:         76
        .size:           4
        .value_kind:     by_value
      - .offset:         80
        .size:           4
        .value_kind:     by_value
      - .offset:         84
        .size:           4
        .value_kind:     by_value
      - .offset:         88
        .size:           4
        .value_kind:     by_value
      - .offset:         92
        .size:           4
        .value_kind:     by_value
      - .offset:         96
        .size:           4
        .value_kind:     hidden_block_count_x
      - .offset:         100
        .size:           4
        .value_kind:     hidden_block_count_y
      - .offset:         104
        .size:           4
        .value_kind:     hidden_block_count_z
      - .offset:         108
        .size:           2
        .value_kind:     hidden_group_size_x
      - .offset:         110
        .size:           2
        .value_kind:     hidden_group_size_y
      - .offset:         112
        .size:           2
        .value_kind:     hidden_group_size_z
      - .offset:         114
        .size:           2
        .value_kind:     hidden_remainder_x
      - .offset:         116
        .size:           2
        .value_kind:     hidden_remainder_y
      - .offset:         118
        .size:           2
        .value_kind:     hidden_remainder_z
      - .offset:         136
        .size:           8
        .value_kind:     hidden_global_offset_x
      - .offset:         144
        .size:           8
        .value_kind:     hidden_global_offset_y
      - .offset:         152
        .size:           8
        .value_kind:     hidden_global_offset_z
      - .offset:         160
        .size:           2
        .value_kind:     hidden_grid_dims
      - .offset:         176
        .size:           8
        .value_kind:     hidden_hostcall_buffer
    .group_segment_fixed_size: 0
    .kernarg_segment_align: 8
    .kernarg_segment_size: 352
    .language:       OpenCL C
    .language_version:
      - 2
      - 0
    .max_flat_workgroup_size: 192
    .name:           _ZL9mul_mat_fI15__hip_bfloat162Li32ELi3ELi3ELb1EEvPKT_PKfPKiPfiiiiiiiiiiiiiiii
    .private_segment_fixed_size: 16
    .sgpr_count:     38
    .sgpr_spill_count: 0
    .symbol:         _ZL9mul_mat_fI15__hip_bfloat162Li32ELi3ELi3ELb1EEvPKT_PKfPKiPfiiiiiiiiiiiiiiii.kd
    .uniform_work_group_size: 1
    .uses_dynamic_stack: false
    .vgpr_count:     38
    .vgpr_spill_count: 0
    .wavefront_size: 64
  - .args:
      - .actual_access:  read_only
        .address_space:  global
        .offset:         0
        .size:           8
        .value_kind:     global_buffer
      - .actual_access:  read_only
        .address_space:  global
        .offset:         8
        .size:           8
        .value_kind:     global_buffer
      - .actual_access:  read_only
        .address_space:  global
        .offset:         16
        .size:           8
        .value_kind:     global_buffer
      - .actual_access:  read_only
        .address_space:  global
        .offset:         24
        .size:           8
        .value_kind:     global_buffer
      - .offset:         32
        .size:           4
        .value_kind:     by_value
      - .offset:         36
        .size:           4
        .value_kind:     by_value
      - .offset:         40
        .size:           4
        .value_kind:     by_value
      - .offset:         44
        .size:           4
        .value_kind:     by_value
      - .offset:         48
        .size:           4
        .value_kind:     by_value
      - .offset:         52
        .size:           4
        .value_kind:     by_value
      - .offset:         56
        .size:           4
        .value_kind:     by_value
      - .offset:         60
        .size:           4
        .value_kind:     by_value
      - .offset:         64
        .size:           4
        .value_kind:     by_value
      - .offset:         68
        .size:           4
        .value_kind:     by_value
      - .offset:         72
        .size:           4
        .value_kind:     by_value
      - .offset:         76
        .size:           4
        .value_kind:     by_value
      - .offset:         80
        .size:           4
        .value_kind:     by_value
      - .offset:         84
        .size:           4
        .value_kind:     by_value
      - .offset:         88
        .size:           4
        .value_kind:     by_value
      - .offset:         92
        .size:           4
        .value_kind:     by_value
      - .offset:         96
        .size:           4
        .value_kind:     hidden_block_count_x
      - .offset:         100
        .size:           4
        .value_kind:     hidden_block_count_y
      - .offset:         104
        .size:           4
        .value_kind:     hidden_block_count_z
      - .offset:         108
        .size:           2
        .value_kind:     hidden_group_size_x
      - .offset:         110
        .size:           2
        .value_kind:     hidden_group_size_y
      - .offset:         112
        .size:           2
        .value_kind:     hidden_group_size_z
      - .offset:         114
        .size:           2
        .value_kind:     hidden_remainder_x
      - .offset:         116
        .size:           2
        .value_kind:     hidden_remainder_y
      - .offset:         118
        .size:           2
        .value_kind:     hidden_remainder_z
      - .offset:         136
        .size:           8
        .value_kind:     hidden_global_offset_x
      - .offset:         144
        .size:           8
        .value_kind:     hidden_global_offset_y
      - .offset:         152
        .size:           8
        .value_kind:     hidden_global_offset_z
      - .offset:         160
        .size:           2
        .value_kind:     hidden_grid_dims
      - .offset:         176
        .size:           8
        .value_kind:     hidden_hostcall_buffer
    .group_segment_fixed_size: 0
    .kernarg_segment_align: 8
    .kernarg_segment_size: 352
    .language:       OpenCL C
    .language_version:
      - 2
      - 0
    .max_flat_workgroup_size: 192
    .name:           _ZL9mul_mat_fI15__hip_bfloat162Li32ELi3ELi3ELb0EEvPKT_PKfPKiPfiiiiiiiiiiiiiiii
    .private_segment_fixed_size: 16
    .sgpr_count:     38
    .sgpr_spill_count: 0
    .symbol:         _ZL9mul_mat_fI15__hip_bfloat162Li32ELi3ELi3ELb0EEvPKT_PKfPKiPfiiiiiiiiiiiiiiii.kd
    .uniform_work_group_size: 1
    .uses_dynamic_stack: false
    .vgpr_count:     38
    .vgpr_spill_count: 0
    .wavefront_size: 64
  - .args:
      - .actual_access:  read_only
        .address_space:  global
        .offset:         0
        .size:           8
        .value_kind:     global_buffer
      - .actual_access:  read_only
        .address_space:  global
        .offset:         8
        .size:           8
        .value_kind:     global_buffer
      - .actual_access:  read_only
        .address_space:  global
        .offset:         16
        .size:           8
        .value_kind:     global_buffer
      - .actual_access:  read_only
        .address_space:  global
        .offset:         24
        .size:           8
        .value_kind:     global_buffer
      - .actual_access:  read_only
        .address_space:  global
        .offset:         32
        .size:           8
        .value_kind:     global_buffer
      - .actual_access:  read_only
        .address_space:  global
        .offset:         40
        .size:           8
        .value_kind:     global_buffer
      - .offset:         48
        .size:           4
        .value_kind:     by_value
      - .offset:         52
        .size:           4
        .value_kind:     by_value
      - .offset:         56
        .size:           4
        .value_kind:     by_value
      - .offset:         60
        .size:           4
        .value_kind:     by_value
      - .offset:         64
        .size:           4
        .value_kind:     by_value
      - .offset:         68
        .size:           4
        .value_kind:     by_value
      - .offset:         72
        .size:           4
        .value_kind:     by_value
      - .offset:         76
        .size:           4
        .value_kind:     by_value
      - .offset:         80
        .size:           4
        .value_kind:     by_value
      - .offset:         84
        .size:           4
        .value_kind:     by_value
      - .offset:         88
        .size:           4
        .value_kind:     by_value
      - .offset:         92
        .size:           4
        .value_kind:     by_value
      - .offset:         96
        .size:           4
        .value_kind:     by_value
      - .offset:         100
        .size:           4
        .value_kind:     by_value
      - .offset:         104
        .size:           12
        .value_kind:     by_value
      - .offset:         116
        .size:           12
        .value_kind:     by_value
      - .offset:         128
        .size:           4
        .value_kind:     hidden_block_count_x
      - .offset:         132
        .size:           4
        .value_kind:     hidden_block_count_y
      - .offset:         136
        .size:           4
        .value_kind:     hidden_block_count_z
      - .offset:         140
        .size:           2
        .value_kind:     hidden_group_size_x
      - .offset:         142
        .size:           2
        .value_kind:     hidden_group_size_y
      - .offset:         144
        .size:           2
        .value_kind:     hidden_group_size_z
      - .offset:         146
        .size:           2
        .value_kind:     hidden_remainder_x
      - .offset:         148
        .size:           2
        .value_kind:     hidden_remainder_y
      - .offset:         150
        .size:           2
        .value_kind:     hidden_remainder_z
      - .offset:         168
        .size:           8
        .value_kind:     hidden_global_offset_x
      - .offset:         176
        .size:           8
        .value_kind:     hidden_global_offset_y
      - .offset:         184
        .size:           8
        .value_kind:     hidden_global_offset_z
      - .offset:         192
        .size:           2
        .value_kind:     hidden_grid_dims
      - .offset:         208
        .size:           8
        .value_kind:     hidden_hostcall_buffer
    .group_segment_fixed_size: 0
    .kernarg_segment_align: 8
    .kernarg_segment_size: 384
    .language:       OpenCL C
    .language_version:
      - 2
      - 0
    .max_flat_workgroup_size: 256
    .name:           _ZL13mul_mat_f_idsI15__hip_bfloat162Li32ELi3ELi4EEvPKT_PKfPKiS7_S7_Pfiiiiiiiiiiiiii15HIP_vector_typeIjLj3EESA_
    .private_segment_fixed_size: 16
    .sgpr_count:     38
    .sgpr_spill_count: 0
    .symbol:         _ZL13mul_mat_f_idsI15__hip_bfloat162Li32ELi3ELi4EEvPKT_PKfPKiS7_S7_Pfiiiiiiiiiiiiii15HIP_vector_typeIjLj3EESA_.kd
    .uniform_work_group_size: 1
    .uses_dynamic_stack: false
    .vgpr_count:     38
    .vgpr_spill_count: 0
    .wavefront_size: 64
  - .args:
      - .actual_access:  read_only
        .address_space:  global
        .offset:         0
        .size:           8
        .value_kind:     global_buffer
      - .actual_access:  read_only
        .address_space:  global
        .offset:         8
        .size:           8
        .value_kind:     global_buffer
      - .actual_access:  read_only
        .address_space:  global
        .offset:         16
        .size:           8
        .value_kind:     global_buffer
      - .actual_access:  read_only
        .address_space:  global
        .offset:         24
        .size:           8
        .value_kind:     global_buffer
      - .offset:         32
        .size:           4
        .value_kind:     by_value
      - .offset:         36
        .size:           4
        .value_kind:     by_value
      - .offset:         40
        .size:           4
        .value_kind:     by_value
      - .offset:         44
        .size:           4
        .value_kind:     by_value
      - .offset:         48
        .size:           4
        .value_kind:     by_value
      - .offset:         52
        .size:           4
        .value_kind:     by_value
      - .offset:         56
        .size:           4
        .value_kind:     by_value
      - .offset:         60
        .size:           4
        .value_kind:     by_value
      - .offset:         64
        .size:           4
        .value_kind:     by_value
      - .offset:         68
        .size:           4
        .value_kind:     by_value
      - .offset:         72
        .size:           4
        .value_kind:     by_value
      - .offset:         76
        .size:           4
        .value_kind:     by_value
      - .offset:         80
        .size:           4
        .value_kind:     by_value
      - .offset:         84
        .size:           4
        .value_kind:     by_value
      - .offset:         88
        .size:           4
        .value_kind:     by_value
      - .offset:         92
        .size:           4
        .value_kind:     by_value
      - .offset:         96
        .size:           4
        .value_kind:     hidden_block_count_x
      - .offset:         100
        .size:           4
        .value_kind:     hidden_block_count_y
      - .offset:         104
        .size:           4
        .value_kind:     hidden_block_count_z
      - .offset:         108
        .size:           2
        .value_kind:     hidden_group_size_x
      - .offset:         110
        .size:           2
        .value_kind:     hidden_group_size_y
      - .offset:         112
        .size:           2
        .value_kind:     hidden_group_size_z
      - .offset:         114
        .size:           2
        .value_kind:     hidden_remainder_x
      - .offset:         116
        .size:           2
        .value_kind:     hidden_remainder_y
      - .offset:         118
        .size:           2
        .value_kind:     hidden_remainder_z
      - .offset:         136
        .size:           8
        .value_kind:     hidden_global_offset_x
      - .offset:         144
        .size:           8
        .value_kind:     hidden_global_offset_y
      - .offset:         152
        .size:           8
        .value_kind:     hidden_global_offset_z
      - .offset:         160
        .size:           2
        .value_kind:     hidden_grid_dims
      - .offset:         176
        .size:           8
        .value_kind:     hidden_hostcall_buffer
    .group_segment_fixed_size: 0
    .kernarg_segment_align: 8
    .kernarg_segment_size: 352
    .language:       OpenCL C
    .language_version:
      - 2
      - 0
    .max_flat_workgroup_size: 256
    .name:           _ZL9mul_mat_fI15__hip_bfloat162Li32ELi3ELi4ELb1EEvPKT_PKfPKiPfiiiiiiiiiiiiiiii
    .private_segment_fixed_size: 16
    .sgpr_count:     38
    .sgpr_spill_count: 0
    .symbol:         _ZL9mul_mat_fI15__hip_bfloat162Li32ELi3ELi4ELb1EEvPKT_PKfPKiPfiiiiiiiiiiiiiiii.kd
    .uniform_work_group_size: 1
    .uses_dynamic_stack: false
    .vgpr_count:     38
    .vgpr_spill_count: 0
    .wavefront_size: 64
  - .args:
      - .actual_access:  read_only
        .address_space:  global
        .offset:         0
        .size:           8
        .value_kind:     global_buffer
      - .actual_access:  read_only
        .address_space:  global
        .offset:         8
        .size:           8
        .value_kind:     global_buffer
      - .actual_access:  read_only
        .address_space:  global
        .offset:         16
        .size:           8
        .value_kind:     global_buffer
      - .actual_access:  read_only
        .address_space:  global
        .offset:         24
        .size:           8
        .value_kind:     global_buffer
      - .offset:         32
        .size:           4
        .value_kind:     by_value
      - .offset:         36
        .size:           4
        .value_kind:     by_value
      - .offset:         40
        .size:           4
        .value_kind:     by_value
      - .offset:         44
        .size:           4
        .value_kind:     by_value
      - .offset:         48
        .size:           4
        .value_kind:     by_value
      - .offset:         52
        .size:           4
        .value_kind:     by_value
      - .offset:         56
        .size:           4
        .value_kind:     by_value
      - .offset:         60
        .size:           4
        .value_kind:     by_value
      - .offset:         64
        .size:           4
        .value_kind:     by_value
      - .offset:         68
        .size:           4
        .value_kind:     by_value
      - .offset:         72
        .size:           4
        .value_kind:     by_value
      - .offset:         76
        .size:           4
        .value_kind:     by_value
      - .offset:         80
        .size:           4
        .value_kind:     by_value
      - .offset:         84
        .size:           4
        .value_kind:     by_value
      - .offset:         88
        .size:           4
        .value_kind:     by_value
      - .offset:         92
        .size:           4
        .value_kind:     by_value
      - .offset:         96
        .size:           4
        .value_kind:     hidden_block_count_x
      - .offset:         100
        .size:           4
        .value_kind:     hidden_block_count_y
      - .offset:         104
        .size:           4
        .value_kind:     hidden_block_count_z
      - .offset:         108
        .size:           2
        .value_kind:     hidden_group_size_x
      - .offset:         110
        .size:           2
        .value_kind:     hidden_group_size_y
      - .offset:         112
        .size:           2
        .value_kind:     hidden_group_size_z
      - .offset:         114
        .size:           2
        .value_kind:     hidden_remainder_x
      - .offset:         116
        .size:           2
        .value_kind:     hidden_remainder_y
      - .offset:         118
        .size:           2
        .value_kind:     hidden_remainder_z
      - .offset:         136
        .size:           8
        .value_kind:     hidden_global_offset_x
      - .offset:         144
        .size:           8
        .value_kind:     hidden_global_offset_y
      - .offset:         152
        .size:           8
        .value_kind:     hidden_global_offset_z
      - .offset:         160
        .size:           2
        .value_kind:     hidden_grid_dims
      - .offset:         176
        .size:           8
        .value_kind:     hidden_hostcall_buffer
    .group_segment_fixed_size: 0
    .kernarg_segment_align: 8
    .kernarg_segment_size: 352
    .language:       OpenCL C
    .language_version:
      - 2
      - 0
    .max_flat_workgroup_size: 256
    .name:           _ZL9mul_mat_fI15__hip_bfloat162Li32ELi3ELi4ELb0EEvPKT_PKfPKiPfiiiiiiiiiiiiiiii
    .private_segment_fixed_size: 16
    .sgpr_count:     38
    .sgpr_spill_count: 0
    .symbol:         _ZL9mul_mat_fI15__hip_bfloat162Li32ELi3ELi4ELb0EEvPKT_PKfPKiPfiiiiiiiiiiiiiiii.kd
    .uniform_work_group_size: 1
    .uses_dynamic_stack: false
    .vgpr_count:     38
    .vgpr_spill_count: 0
    .wavefront_size: 64
  - .args:
      - .actual_access:  read_only
        .address_space:  global
        .offset:         0
        .size:           8
        .value_kind:     global_buffer
      - .actual_access:  read_only
        .address_space:  global
        .offset:         8
        .size:           8
        .value_kind:     global_buffer
      - .actual_access:  read_only
        .address_space:  global
        .offset:         16
        .size:           8
        .value_kind:     global_buffer
      - .actual_access:  read_only
        .address_space:  global
        .offset:         24
        .size:           8
        .value_kind:     global_buffer
      - .actual_access:  read_only
        .address_space:  global
        .offset:         32
        .size:           8
        .value_kind:     global_buffer
      - .actual_access:  read_only
        .address_space:  global
        .offset:         40
        .size:           8
        .value_kind:     global_buffer
      - .offset:         48
        .size:           4
        .value_kind:     by_value
      - .offset:         52
        .size:           4
        .value_kind:     by_value
      - .offset:         56
        .size:           4
        .value_kind:     by_value
      - .offset:         60
        .size:           4
        .value_kind:     by_value
      - .offset:         64
        .size:           4
        .value_kind:     by_value
      - .offset:         68
        .size:           4
        .value_kind:     by_value
      - .offset:         72
        .size:           4
        .value_kind:     by_value
      - .offset:         76
        .size:           4
        .value_kind:     by_value
      - .offset:         80
        .size:           4
        .value_kind:     by_value
      - .offset:         84
        .size:           4
        .value_kind:     by_value
      - .offset:         88
        .size:           4
        .value_kind:     by_value
      - .offset:         92
        .size:           4
        .value_kind:     by_value
      - .offset:         96
        .size:           4
        .value_kind:     by_value
      - .offset:         100
        .size:           4
        .value_kind:     by_value
      - .offset:         104
        .size:           12
        .value_kind:     by_value
      - .offset:         116
        .size:           12
        .value_kind:     by_value
      - .offset:         128
        .size:           4
        .value_kind:     hidden_block_count_x
      - .offset:         132
        .size:           4
        .value_kind:     hidden_block_count_y
      - .offset:         136
        .size:           4
        .value_kind:     hidden_block_count_z
      - .offset:         140
        .size:           2
        .value_kind:     hidden_group_size_x
      - .offset:         142
        .size:           2
        .value_kind:     hidden_group_size_y
      - .offset:         144
        .size:           2
        .value_kind:     hidden_group_size_z
      - .offset:         146
        .size:           2
        .value_kind:     hidden_remainder_x
      - .offset:         148
        .size:           2
        .value_kind:     hidden_remainder_y
      - .offset:         150
        .size:           2
        .value_kind:     hidden_remainder_z
      - .offset:         168
        .size:           8
        .value_kind:     hidden_global_offset_x
      - .offset:         176
        .size:           8
        .value_kind:     hidden_global_offset_y
      - .offset:         184
        .size:           8
        .value_kind:     hidden_global_offset_z
      - .offset:         192
        .size:           2
        .value_kind:     hidden_grid_dims
      - .offset:         208
        .size:           8
        .value_kind:     hidden_hostcall_buffer
    .group_segment_fixed_size: 0
    .kernarg_segment_align: 8
    .kernarg_segment_size: 384
    .language:       OpenCL C
    .language_version:
      - 2
      - 0
    .max_flat_workgroup_size: 320
    .name:           _ZL13mul_mat_f_idsI15__hip_bfloat162Li32ELi3ELi5EEvPKT_PKfPKiS7_S7_Pfiiiiiiiiiiiiii15HIP_vector_typeIjLj3EESA_
    .private_segment_fixed_size: 16
    .sgpr_count:     38
    .sgpr_spill_count: 0
    .symbol:         _ZL13mul_mat_f_idsI15__hip_bfloat162Li32ELi3ELi5EEvPKT_PKfPKiS7_S7_Pfiiiiiiiiiiiiii15HIP_vector_typeIjLj3EESA_.kd
    .uniform_work_group_size: 1
    .uses_dynamic_stack: false
    .vgpr_count:     38
    .vgpr_spill_count: 0
    .wavefront_size: 64
  - .args:
      - .actual_access:  read_only
        .address_space:  global
        .offset:         0
        .size:           8
        .value_kind:     global_buffer
      - .actual_access:  read_only
        .address_space:  global
        .offset:         8
        .size:           8
        .value_kind:     global_buffer
      - .actual_access:  read_only
        .address_space:  global
        .offset:         16
        .size:           8
        .value_kind:     global_buffer
      - .actual_access:  read_only
        .address_space:  global
        .offset:         24
        .size:           8
        .value_kind:     global_buffer
      - .offset:         32
        .size:           4
        .value_kind:     by_value
      - .offset:         36
        .size:           4
        .value_kind:     by_value
      - .offset:         40
        .size:           4
        .value_kind:     by_value
      - .offset:         44
        .size:           4
        .value_kind:     by_value
      - .offset:         48
        .size:           4
        .value_kind:     by_value
      - .offset:         52
        .size:           4
        .value_kind:     by_value
      - .offset:         56
        .size:           4
        .value_kind:     by_value
      - .offset:         60
        .size:           4
        .value_kind:     by_value
      - .offset:         64
        .size:           4
        .value_kind:     by_value
      - .offset:         68
        .size:           4
        .value_kind:     by_value
      - .offset:         72
        .size:           4
        .value_kind:     by_value
      - .offset:         76
        .size:           4
        .value_kind:     by_value
      - .offset:         80
        .size:           4
        .value_kind:     by_value
      - .offset:         84
        .size:           4
        .value_kind:     by_value
      - .offset:         88
        .size:           4
        .value_kind:     by_value
      - .offset:         92
        .size:           4
        .value_kind:     by_value
      - .offset:         96
        .size:           4
        .value_kind:     hidden_block_count_x
      - .offset:         100
        .size:           4
        .value_kind:     hidden_block_count_y
      - .offset:         104
        .size:           4
        .value_kind:     hidden_block_count_z
      - .offset:         108
        .size:           2
        .value_kind:     hidden_group_size_x
      - .offset:         110
        .size:           2
        .value_kind:     hidden_group_size_y
      - .offset:         112
        .size:           2
        .value_kind:     hidden_group_size_z
      - .offset:         114
        .size:           2
        .value_kind:     hidden_remainder_x
      - .offset:         116
        .size:           2
        .value_kind:     hidden_remainder_y
      - .offset:         118
        .size:           2
        .value_kind:     hidden_remainder_z
      - .offset:         136
        .size:           8
        .value_kind:     hidden_global_offset_x
      - .offset:         144
        .size:           8
        .value_kind:     hidden_global_offset_y
      - .offset:         152
        .size:           8
        .value_kind:     hidden_global_offset_z
      - .offset:         160
        .size:           2
        .value_kind:     hidden_grid_dims
      - .offset:         176
        .size:           8
        .value_kind:     hidden_hostcall_buffer
    .group_segment_fixed_size: 0
    .kernarg_segment_align: 8
    .kernarg_segment_size: 352
    .language:       OpenCL C
    .language_version:
      - 2
      - 0
    .max_flat_workgroup_size: 320
    .name:           _ZL9mul_mat_fI15__hip_bfloat162Li32ELi3ELi5ELb1EEvPKT_PKfPKiPfiiiiiiiiiiiiiiii
    .private_segment_fixed_size: 16
    .sgpr_count:     38
    .sgpr_spill_count: 0
    .symbol:         _ZL9mul_mat_fI15__hip_bfloat162Li32ELi3ELi5ELb1EEvPKT_PKfPKiPfiiiiiiiiiiiiiiii.kd
    .uniform_work_group_size: 1
    .uses_dynamic_stack: false
    .vgpr_count:     38
    .vgpr_spill_count: 0
    .wavefront_size: 64
  - .args:
      - .actual_access:  read_only
        .address_space:  global
        .offset:         0
        .size:           8
        .value_kind:     global_buffer
      - .actual_access:  read_only
        .address_space:  global
        .offset:         8
        .size:           8
        .value_kind:     global_buffer
      - .actual_access:  read_only
        .address_space:  global
        .offset:         16
        .size:           8
        .value_kind:     global_buffer
      - .actual_access:  read_only
        .address_space:  global
        .offset:         24
        .size:           8
        .value_kind:     global_buffer
      - .offset:         32
        .size:           4
        .value_kind:     by_value
      - .offset:         36
        .size:           4
        .value_kind:     by_value
      - .offset:         40
        .size:           4
        .value_kind:     by_value
      - .offset:         44
        .size:           4
        .value_kind:     by_value
      - .offset:         48
        .size:           4
        .value_kind:     by_value
      - .offset:         52
        .size:           4
        .value_kind:     by_value
      - .offset:         56
        .size:           4
        .value_kind:     by_value
      - .offset:         60
        .size:           4
        .value_kind:     by_value
      - .offset:         64
        .size:           4
        .value_kind:     by_value
      - .offset:         68
        .size:           4
        .value_kind:     by_value
      - .offset:         72
        .size:           4
        .value_kind:     by_value
      - .offset:         76
        .size:           4
        .value_kind:     by_value
      - .offset:         80
        .size:           4
        .value_kind:     by_value
      - .offset:         84
        .size:           4
        .value_kind:     by_value
      - .offset:         88
        .size:           4
        .value_kind:     by_value
      - .offset:         92
        .size:           4
        .value_kind:     by_value
      - .offset:         96
        .size:           4
        .value_kind:     hidden_block_count_x
      - .offset:         100
        .size:           4
        .value_kind:     hidden_block_count_y
      - .offset:         104
        .size:           4
        .value_kind:     hidden_block_count_z
      - .offset:         108
        .size:           2
        .value_kind:     hidden_group_size_x
      - .offset:         110
        .size:           2
        .value_kind:     hidden_group_size_y
      - .offset:         112
        .size:           2
        .value_kind:     hidden_group_size_z
      - .offset:         114
        .size:           2
        .value_kind:     hidden_remainder_x
      - .offset:         116
        .size:           2
        .value_kind:     hidden_remainder_y
      - .offset:         118
        .size:           2
        .value_kind:     hidden_remainder_z
      - .offset:         136
        .size:           8
        .value_kind:     hidden_global_offset_x
      - .offset:         144
        .size:           8
        .value_kind:     hidden_global_offset_y
      - .offset:         152
        .size:           8
        .value_kind:     hidden_global_offset_z
      - .offset:         160
        .size:           2
        .value_kind:     hidden_grid_dims
      - .offset:         176
        .size:           8
        .value_kind:     hidden_hostcall_buffer
    .group_segment_fixed_size: 0
    .kernarg_segment_align: 8
    .kernarg_segment_size: 352
    .language:       OpenCL C
    .language_version:
      - 2
      - 0
    .max_flat_workgroup_size: 320
    .name:           _ZL9mul_mat_fI15__hip_bfloat162Li32ELi3ELi5ELb0EEvPKT_PKfPKiPfiiiiiiiiiiiiiiii
    .private_segment_fixed_size: 16
    .sgpr_count:     38
    .sgpr_spill_count: 0
    .symbol:         _ZL9mul_mat_fI15__hip_bfloat162Li32ELi3ELi5ELb0EEvPKT_PKfPKiPfiiiiiiiiiiiiiiii.kd
    .uniform_work_group_size: 1
    .uses_dynamic_stack: false
    .vgpr_count:     38
    .vgpr_spill_count: 0
    .wavefront_size: 64
  - .args:
      - .actual_access:  read_only
        .address_space:  global
        .offset:         0
        .size:           8
        .value_kind:     global_buffer
      - .actual_access:  read_only
        .address_space:  global
        .offset:         8
        .size:           8
        .value_kind:     global_buffer
      - .actual_access:  read_only
        .address_space:  global
        .offset:         16
        .size:           8
        .value_kind:     global_buffer
      - .actual_access:  read_only
        .address_space:  global
        .offset:         24
        .size:           8
        .value_kind:     global_buffer
      - .actual_access:  read_only
        .address_space:  global
        .offset:         32
        .size:           8
        .value_kind:     global_buffer
      - .actual_access:  read_only
        .address_space:  global
        .offset:         40
        .size:           8
        .value_kind:     global_buffer
      - .offset:         48
        .size:           4
        .value_kind:     by_value
      - .offset:         52
        .size:           4
        .value_kind:     by_value
      - .offset:         56
        .size:           4
        .value_kind:     by_value
      - .offset:         60
        .size:           4
        .value_kind:     by_value
      - .offset:         64
        .size:           4
        .value_kind:     by_value
      - .offset:         68
        .size:           4
        .value_kind:     by_value
      - .offset:         72
        .size:           4
        .value_kind:     by_value
      - .offset:         76
        .size:           4
        .value_kind:     by_value
      - .offset:         80
        .size:           4
        .value_kind:     by_value
      - .offset:         84
        .size:           4
        .value_kind:     by_value
      - .offset:         88
        .size:           4
        .value_kind:     by_value
      - .offset:         92
        .size:           4
        .value_kind:     by_value
      - .offset:         96
        .size:           4
        .value_kind:     by_value
      - .offset:         100
        .size:           4
        .value_kind:     by_value
      - .offset:         104
        .size:           12
        .value_kind:     by_value
      - .offset:         116
        .size:           12
        .value_kind:     by_value
      - .offset:         128
        .size:           4
        .value_kind:     hidden_block_count_x
      - .offset:         132
        .size:           4
        .value_kind:     hidden_block_count_y
      - .offset:         136
        .size:           4
        .value_kind:     hidden_block_count_z
      - .offset:         140
        .size:           2
        .value_kind:     hidden_group_size_x
      - .offset:         142
        .size:           2
        .value_kind:     hidden_group_size_y
      - .offset:         144
        .size:           2
        .value_kind:     hidden_group_size_z
      - .offset:         146
        .size:           2
        .value_kind:     hidden_remainder_x
      - .offset:         148
        .size:           2
        .value_kind:     hidden_remainder_y
      - .offset:         150
        .size:           2
        .value_kind:     hidden_remainder_z
      - .offset:         168
        .size:           8
        .value_kind:     hidden_global_offset_x
      - .offset:         176
        .size:           8
        .value_kind:     hidden_global_offset_y
      - .offset:         184
        .size:           8
        .value_kind:     hidden_global_offset_z
      - .offset:         192
        .size:           2
        .value_kind:     hidden_grid_dims
      - .offset:         208
        .size:           8
        .value_kind:     hidden_hostcall_buffer
    .group_segment_fixed_size: 0
    .kernarg_segment_align: 8
    .kernarg_segment_size: 384
    .language:       OpenCL C
    .language_version:
      - 2
      - 0
    .max_flat_workgroup_size: 384
    .name:           _ZL13mul_mat_f_idsI15__hip_bfloat162Li32ELi3ELi6EEvPKT_PKfPKiS7_S7_Pfiiiiiiiiiiiiii15HIP_vector_typeIjLj3EESA_
    .private_segment_fixed_size: 16
    .sgpr_count:     38
    .sgpr_spill_count: 0
    .symbol:         _ZL13mul_mat_f_idsI15__hip_bfloat162Li32ELi3ELi6EEvPKT_PKfPKiS7_S7_Pfiiiiiiiiiiiiii15HIP_vector_typeIjLj3EESA_.kd
    .uniform_work_group_size: 1
    .uses_dynamic_stack: false
    .vgpr_count:     38
    .vgpr_spill_count: 0
    .wavefront_size: 64
  - .args:
      - .actual_access:  read_only
        .address_space:  global
        .offset:         0
        .size:           8
        .value_kind:     global_buffer
      - .actual_access:  read_only
        .address_space:  global
        .offset:         8
        .size:           8
        .value_kind:     global_buffer
      - .actual_access:  read_only
        .address_space:  global
        .offset:         16
        .size:           8
        .value_kind:     global_buffer
      - .actual_access:  read_only
        .address_space:  global
        .offset:         24
        .size:           8
        .value_kind:     global_buffer
      - .offset:         32
        .size:           4
        .value_kind:     by_value
      - .offset:         36
        .size:           4
        .value_kind:     by_value
      - .offset:         40
        .size:           4
        .value_kind:     by_value
      - .offset:         44
        .size:           4
        .value_kind:     by_value
      - .offset:         48
        .size:           4
        .value_kind:     by_value
      - .offset:         52
        .size:           4
        .value_kind:     by_value
      - .offset:         56
        .size:           4
        .value_kind:     by_value
      - .offset:         60
        .size:           4
        .value_kind:     by_value
      - .offset:         64
        .size:           4
        .value_kind:     by_value
      - .offset:         68
        .size:           4
        .value_kind:     by_value
      - .offset:         72
        .size:           4
        .value_kind:     by_value
      - .offset:         76
        .size:           4
        .value_kind:     by_value
      - .offset:         80
        .size:           4
        .value_kind:     by_value
      - .offset:         84
        .size:           4
        .value_kind:     by_value
      - .offset:         88
        .size:           4
        .value_kind:     by_value
      - .offset:         92
        .size:           4
        .value_kind:     by_value
      - .offset:         96
        .size:           4
        .value_kind:     hidden_block_count_x
      - .offset:         100
        .size:           4
        .value_kind:     hidden_block_count_y
      - .offset:         104
        .size:           4
        .value_kind:     hidden_block_count_z
      - .offset:         108
        .size:           2
        .value_kind:     hidden_group_size_x
      - .offset:         110
        .size:           2
        .value_kind:     hidden_group_size_y
      - .offset:         112
        .size:           2
        .value_kind:     hidden_group_size_z
      - .offset:         114
        .size:           2
        .value_kind:     hidden_remainder_x
      - .offset:         116
        .size:           2
        .value_kind:     hidden_remainder_y
      - .offset:         118
        .size:           2
        .value_kind:     hidden_remainder_z
      - .offset:         136
        .size:           8
        .value_kind:     hidden_global_offset_x
      - .offset:         144
        .size:           8
        .value_kind:     hidden_global_offset_y
      - .offset:         152
        .size:           8
        .value_kind:     hidden_global_offset_z
      - .offset:         160
        .size:           2
        .value_kind:     hidden_grid_dims
      - .offset:         176
        .size:           8
        .value_kind:     hidden_hostcall_buffer
    .group_segment_fixed_size: 0
    .kernarg_segment_align: 8
    .kernarg_segment_size: 352
    .language:       OpenCL C
    .language_version:
      - 2
      - 0
    .max_flat_workgroup_size: 384
    .name:           _ZL9mul_mat_fI15__hip_bfloat162Li32ELi3ELi6ELb1EEvPKT_PKfPKiPfiiiiiiiiiiiiiiii
    .private_segment_fixed_size: 16
    .sgpr_count:     38
    .sgpr_spill_count: 0
    .symbol:         _ZL9mul_mat_fI15__hip_bfloat162Li32ELi3ELi6ELb1EEvPKT_PKfPKiPfiiiiiiiiiiiiiiii.kd
    .uniform_work_group_size: 1
    .uses_dynamic_stack: false
    .vgpr_count:     38
    .vgpr_spill_count: 0
    .wavefront_size: 64
  - .args:
      - .actual_access:  read_only
        .address_space:  global
        .offset:         0
        .size:           8
        .value_kind:     global_buffer
      - .actual_access:  read_only
        .address_space:  global
        .offset:         8
        .size:           8
        .value_kind:     global_buffer
      - .actual_access:  read_only
        .address_space:  global
        .offset:         16
        .size:           8
        .value_kind:     global_buffer
      - .actual_access:  read_only
        .address_space:  global
        .offset:         24
        .size:           8
        .value_kind:     global_buffer
      - .offset:         32
        .size:           4
        .value_kind:     by_value
      - .offset:         36
        .size:           4
        .value_kind:     by_value
      - .offset:         40
        .size:           4
        .value_kind:     by_value
      - .offset:         44
        .size:           4
        .value_kind:     by_value
      - .offset:         48
        .size:           4
        .value_kind:     by_value
      - .offset:         52
        .size:           4
        .value_kind:     by_value
      - .offset:         56
        .size:           4
        .value_kind:     by_value
      - .offset:         60
        .size:           4
        .value_kind:     by_value
      - .offset:         64
        .size:           4
        .value_kind:     by_value
      - .offset:         68
        .size:           4
        .value_kind:     by_value
      - .offset:         72
        .size:           4
        .value_kind:     by_value
      - .offset:         76
        .size:           4
        .value_kind:     by_value
      - .offset:         80
        .size:           4
        .value_kind:     by_value
      - .offset:         84
        .size:           4
        .value_kind:     by_value
      - .offset:         88
        .size:           4
        .value_kind:     by_value
      - .offset:         92
        .size:           4
        .value_kind:     by_value
      - .offset:         96
        .size:           4
        .value_kind:     hidden_block_count_x
      - .offset:         100
        .size:           4
        .value_kind:     hidden_block_count_y
      - .offset:         104
        .size:           4
        .value_kind:     hidden_block_count_z
      - .offset:         108
        .size:           2
        .value_kind:     hidden_group_size_x
      - .offset:         110
        .size:           2
        .value_kind:     hidden_group_size_y
      - .offset:         112
        .size:           2
        .value_kind:     hidden_group_size_z
      - .offset:         114
        .size:           2
        .value_kind:     hidden_remainder_x
      - .offset:         116
        .size:           2
        .value_kind:     hidden_remainder_y
      - .offset:         118
        .size:           2
        .value_kind:     hidden_remainder_z
      - .offset:         136
        .size:           8
        .value_kind:     hidden_global_offset_x
      - .offset:         144
        .size:           8
        .value_kind:     hidden_global_offset_y
      - .offset:         152
        .size:           8
        .value_kind:     hidden_global_offset_z
      - .offset:         160
        .size:           2
        .value_kind:     hidden_grid_dims
      - .offset:         176
        .size:           8
        .value_kind:     hidden_hostcall_buffer
    .group_segment_fixed_size: 0
    .kernarg_segment_align: 8
    .kernarg_segment_size: 352
    .language:       OpenCL C
    .language_version:
      - 2
      - 0
    .max_flat_workgroup_size: 384
    .name:           _ZL9mul_mat_fI15__hip_bfloat162Li32ELi3ELi6ELb0EEvPKT_PKfPKiPfiiiiiiiiiiiiiiii
    .private_segment_fixed_size: 16
    .sgpr_count:     38
    .sgpr_spill_count: 0
    .symbol:         _ZL9mul_mat_fI15__hip_bfloat162Li32ELi3ELi6ELb0EEvPKT_PKfPKiPfiiiiiiiiiiiiiiii.kd
    .uniform_work_group_size: 1
    .uses_dynamic_stack: false
    .vgpr_count:     38
    .vgpr_spill_count: 0
    .wavefront_size: 64
  - .args:
      - .actual_access:  read_only
        .address_space:  global
        .offset:         0
        .size:           8
        .value_kind:     global_buffer
      - .actual_access:  read_only
        .address_space:  global
        .offset:         8
        .size:           8
        .value_kind:     global_buffer
      - .actual_access:  read_only
        .address_space:  global
        .offset:         16
        .size:           8
        .value_kind:     global_buffer
      - .actual_access:  read_only
        .address_space:  global
        .offset:         24
        .size:           8
        .value_kind:     global_buffer
      - .actual_access:  read_only
        .address_space:  global
        .offset:         32
        .size:           8
        .value_kind:     global_buffer
      - .actual_access:  read_only
        .address_space:  global
        .offset:         40
        .size:           8
        .value_kind:     global_buffer
      - .offset:         48
        .size:           4
        .value_kind:     by_value
      - .offset:         52
        .size:           4
        .value_kind:     by_value
      - .offset:         56
        .size:           4
        .value_kind:     by_value
      - .offset:         60
        .size:           4
        .value_kind:     by_value
      - .offset:         64
        .size:           4
        .value_kind:     by_value
      - .offset:         68
        .size:           4
        .value_kind:     by_value
      - .offset:         72
        .size:           4
        .value_kind:     by_value
      - .offset:         76
        .size:           4
        .value_kind:     by_value
      - .offset:         80
        .size:           4
        .value_kind:     by_value
      - .offset:         84
        .size:           4
        .value_kind:     by_value
      - .offset:         88
        .size:           4
        .value_kind:     by_value
      - .offset:         92
        .size:           4
        .value_kind:     by_value
      - .offset:         96
        .size:           4
        .value_kind:     by_value
      - .offset:         100
        .size:           4
        .value_kind:     by_value
      - .offset:         104
        .size:           12
        .value_kind:     by_value
      - .offset:         116
        .size:           12
        .value_kind:     by_value
      - .offset:         128
        .size:           4
        .value_kind:     hidden_block_count_x
      - .offset:         132
        .size:           4
        .value_kind:     hidden_block_count_y
      - .offset:         136
        .size:           4
        .value_kind:     hidden_block_count_z
      - .offset:         140
        .size:           2
        .value_kind:     hidden_group_size_x
      - .offset:         142
        .size:           2
        .value_kind:     hidden_group_size_y
      - .offset:         144
        .size:           2
        .value_kind:     hidden_group_size_z
      - .offset:         146
        .size:           2
        .value_kind:     hidden_remainder_x
      - .offset:         148
        .size:           2
        .value_kind:     hidden_remainder_y
      - .offset:         150
        .size:           2
        .value_kind:     hidden_remainder_z
      - .offset:         168
        .size:           8
        .value_kind:     hidden_global_offset_x
      - .offset:         176
        .size:           8
        .value_kind:     hidden_global_offset_y
      - .offset:         184
        .size:           8
        .value_kind:     hidden_global_offset_z
      - .offset:         192
        .size:           2
        .value_kind:     hidden_grid_dims
      - .offset:         208
        .size:           8
        .value_kind:     hidden_hostcall_buffer
    .group_segment_fixed_size: 0
    .kernarg_segment_align: 8
    .kernarg_segment_size: 384
    .language:       OpenCL C
    .language_version:
      - 2
      - 0
    .max_flat_workgroup_size: 448
    .name:           _ZL13mul_mat_f_idsI15__hip_bfloat162Li32ELi3ELi7EEvPKT_PKfPKiS7_S7_Pfiiiiiiiiiiiiii15HIP_vector_typeIjLj3EESA_
    .private_segment_fixed_size: 16
    .sgpr_count:     38
    .sgpr_spill_count: 0
    .symbol:         _ZL13mul_mat_f_idsI15__hip_bfloat162Li32ELi3ELi7EEvPKT_PKfPKiS7_S7_Pfiiiiiiiiiiiiii15HIP_vector_typeIjLj3EESA_.kd
    .uniform_work_group_size: 1
    .uses_dynamic_stack: false
    .vgpr_count:     38
    .vgpr_spill_count: 0
    .wavefront_size: 64
  - .args:
      - .actual_access:  read_only
        .address_space:  global
        .offset:         0
        .size:           8
        .value_kind:     global_buffer
      - .actual_access:  read_only
        .address_space:  global
        .offset:         8
        .size:           8
        .value_kind:     global_buffer
      - .actual_access:  read_only
        .address_space:  global
        .offset:         16
        .size:           8
        .value_kind:     global_buffer
      - .actual_access:  read_only
        .address_space:  global
        .offset:         24
        .size:           8
        .value_kind:     global_buffer
      - .offset:         32
        .size:           4
        .value_kind:     by_value
      - .offset:         36
        .size:           4
        .value_kind:     by_value
      - .offset:         40
        .size:           4
        .value_kind:     by_value
      - .offset:         44
        .size:           4
        .value_kind:     by_value
      - .offset:         48
        .size:           4
        .value_kind:     by_value
      - .offset:         52
        .size:           4
        .value_kind:     by_value
      - .offset:         56
        .size:           4
        .value_kind:     by_value
      - .offset:         60
        .size:           4
        .value_kind:     by_value
      - .offset:         64
        .size:           4
        .value_kind:     by_value
      - .offset:         68
        .size:           4
        .value_kind:     by_value
      - .offset:         72
        .size:           4
        .value_kind:     by_value
      - .offset:         76
        .size:           4
        .value_kind:     by_value
      - .offset:         80
        .size:           4
        .value_kind:     by_value
      - .offset:         84
        .size:           4
        .value_kind:     by_value
      - .offset:         88
        .size:           4
        .value_kind:     by_value
      - .offset:         92
        .size:           4
        .value_kind:     by_value
      - .offset:         96
        .size:           4
        .value_kind:     hidden_block_count_x
      - .offset:         100
        .size:           4
        .value_kind:     hidden_block_count_y
      - .offset:         104
        .size:           4
        .value_kind:     hidden_block_count_z
      - .offset:         108
        .size:           2
        .value_kind:     hidden_group_size_x
      - .offset:         110
        .size:           2
        .value_kind:     hidden_group_size_y
      - .offset:         112
        .size:           2
        .value_kind:     hidden_group_size_z
      - .offset:         114
        .size:           2
        .value_kind:     hidden_remainder_x
      - .offset:         116
        .size:           2
        .value_kind:     hidden_remainder_y
      - .offset:         118
        .size:           2
        .value_kind:     hidden_remainder_z
      - .offset:         136
        .size:           8
        .value_kind:     hidden_global_offset_x
      - .offset:         144
        .size:           8
        .value_kind:     hidden_global_offset_y
      - .offset:         152
        .size:           8
        .value_kind:     hidden_global_offset_z
      - .offset:         160
        .size:           2
        .value_kind:     hidden_grid_dims
      - .offset:         176
        .size:           8
        .value_kind:     hidden_hostcall_buffer
    .group_segment_fixed_size: 0
    .kernarg_segment_align: 8
    .kernarg_segment_size: 352
    .language:       OpenCL C
    .language_version:
      - 2
      - 0
    .max_flat_workgroup_size: 448
    .name:           _ZL9mul_mat_fI15__hip_bfloat162Li32ELi3ELi7ELb1EEvPKT_PKfPKiPfiiiiiiiiiiiiiiii
    .private_segment_fixed_size: 16
    .sgpr_count:     38
    .sgpr_spill_count: 0
    .symbol:         _ZL9mul_mat_fI15__hip_bfloat162Li32ELi3ELi7ELb1EEvPKT_PKfPKiPfiiiiiiiiiiiiiiii.kd
    .uniform_work_group_size: 1
    .uses_dynamic_stack: false
    .vgpr_count:     38
    .vgpr_spill_count: 0
    .wavefront_size: 64
  - .args:
      - .actual_access:  read_only
        .address_space:  global
        .offset:         0
        .size:           8
        .value_kind:     global_buffer
      - .actual_access:  read_only
        .address_space:  global
        .offset:         8
        .size:           8
        .value_kind:     global_buffer
      - .actual_access:  read_only
        .address_space:  global
        .offset:         16
        .size:           8
        .value_kind:     global_buffer
      - .actual_access:  read_only
        .address_space:  global
        .offset:         24
        .size:           8
        .value_kind:     global_buffer
      - .offset:         32
        .size:           4
        .value_kind:     by_value
      - .offset:         36
        .size:           4
        .value_kind:     by_value
      - .offset:         40
        .size:           4
        .value_kind:     by_value
      - .offset:         44
        .size:           4
        .value_kind:     by_value
      - .offset:         48
        .size:           4
        .value_kind:     by_value
      - .offset:         52
        .size:           4
        .value_kind:     by_value
      - .offset:         56
        .size:           4
        .value_kind:     by_value
      - .offset:         60
        .size:           4
        .value_kind:     by_value
      - .offset:         64
        .size:           4
        .value_kind:     by_value
      - .offset:         68
        .size:           4
        .value_kind:     by_value
      - .offset:         72
        .size:           4
        .value_kind:     by_value
      - .offset:         76
        .size:           4
        .value_kind:     by_value
      - .offset:         80
        .size:           4
        .value_kind:     by_value
      - .offset:         84
        .size:           4
        .value_kind:     by_value
      - .offset:         88
        .size:           4
        .value_kind:     by_value
      - .offset:         92
        .size:           4
        .value_kind:     by_value
      - .offset:         96
        .size:           4
        .value_kind:     hidden_block_count_x
      - .offset:         100
        .size:           4
        .value_kind:     hidden_block_count_y
      - .offset:         104
        .size:           4
        .value_kind:     hidden_block_count_z
      - .offset:         108
        .size:           2
        .value_kind:     hidden_group_size_x
      - .offset:         110
        .size:           2
        .value_kind:     hidden_group_size_y
      - .offset:         112
        .size:           2
        .value_kind:     hidden_group_size_z
      - .offset:         114
        .size:           2
        .value_kind:     hidden_remainder_x
      - .offset:         116
        .size:           2
        .value_kind:     hidden_remainder_y
      - .offset:         118
        .size:           2
        .value_kind:     hidden_remainder_z
      - .offset:         136
        .size:           8
        .value_kind:     hidden_global_offset_x
      - .offset:         144
        .size:           8
        .value_kind:     hidden_global_offset_y
      - .offset:         152
        .size:           8
        .value_kind:     hidden_global_offset_z
      - .offset:         160
        .size:           2
        .value_kind:     hidden_grid_dims
      - .offset:         176
        .size:           8
        .value_kind:     hidden_hostcall_buffer
    .group_segment_fixed_size: 0
    .kernarg_segment_align: 8
    .kernarg_segment_size: 352
    .language:       OpenCL C
    .language_version:
      - 2
      - 0
    .max_flat_workgroup_size: 448
    .name:           _ZL9mul_mat_fI15__hip_bfloat162Li32ELi3ELi7ELb0EEvPKT_PKfPKiPfiiiiiiiiiiiiiiii
    .private_segment_fixed_size: 16
    .sgpr_count:     38
    .sgpr_spill_count: 0
    .symbol:         _ZL9mul_mat_fI15__hip_bfloat162Li32ELi3ELi7ELb0EEvPKT_PKfPKiPfiiiiiiiiiiiiiiii.kd
    .uniform_work_group_size: 1
    .uses_dynamic_stack: false
    .vgpr_count:     38
    .vgpr_spill_count: 0
    .wavefront_size: 64
  - .args:
      - .actual_access:  read_only
        .address_space:  global
        .offset:         0
        .size:           8
        .value_kind:     global_buffer
      - .actual_access:  read_only
        .address_space:  global
        .offset:         8
        .size:           8
        .value_kind:     global_buffer
      - .actual_access:  read_only
        .address_space:  global
        .offset:         16
        .size:           8
        .value_kind:     global_buffer
      - .actual_access:  read_only
        .address_space:  global
        .offset:         24
        .size:           8
        .value_kind:     global_buffer
      - .actual_access:  read_only
        .address_space:  global
        .offset:         32
        .size:           8
        .value_kind:     global_buffer
      - .actual_access:  read_only
        .address_space:  global
        .offset:         40
        .size:           8
        .value_kind:     global_buffer
      - .offset:         48
        .size:           4
        .value_kind:     by_value
      - .offset:         52
        .size:           4
        .value_kind:     by_value
      - .offset:         56
        .size:           4
        .value_kind:     by_value
      - .offset:         60
        .size:           4
        .value_kind:     by_value
      - .offset:         64
        .size:           4
        .value_kind:     by_value
      - .offset:         68
        .size:           4
        .value_kind:     by_value
      - .offset:         72
        .size:           4
        .value_kind:     by_value
      - .offset:         76
        .size:           4
        .value_kind:     by_value
      - .offset:         80
        .size:           4
        .value_kind:     by_value
      - .offset:         84
        .size:           4
        .value_kind:     by_value
      - .offset:         88
        .size:           4
        .value_kind:     by_value
      - .offset:         92
        .size:           4
        .value_kind:     by_value
      - .offset:         96
        .size:           4
        .value_kind:     by_value
      - .offset:         100
        .size:           4
        .value_kind:     by_value
      - .offset:         104
        .size:           12
        .value_kind:     by_value
      - .offset:         116
        .size:           12
        .value_kind:     by_value
      - .offset:         128
        .size:           4
        .value_kind:     hidden_block_count_x
      - .offset:         132
        .size:           4
        .value_kind:     hidden_block_count_y
      - .offset:         136
        .size:           4
        .value_kind:     hidden_block_count_z
      - .offset:         140
        .size:           2
        .value_kind:     hidden_group_size_x
      - .offset:         142
        .size:           2
        .value_kind:     hidden_group_size_y
      - .offset:         144
        .size:           2
        .value_kind:     hidden_group_size_z
      - .offset:         146
        .size:           2
        .value_kind:     hidden_remainder_x
      - .offset:         148
        .size:           2
        .value_kind:     hidden_remainder_y
      - .offset:         150
        .size:           2
        .value_kind:     hidden_remainder_z
      - .offset:         168
        .size:           8
        .value_kind:     hidden_global_offset_x
      - .offset:         176
        .size:           8
        .value_kind:     hidden_global_offset_y
      - .offset:         184
        .size:           8
        .value_kind:     hidden_global_offset_z
      - .offset:         192
        .size:           2
        .value_kind:     hidden_grid_dims
      - .offset:         208
        .size:           8
        .value_kind:     hidden_hostcall_buffer
    .group_segment_fixed_size: 0
    .kernarg_segment_align: 8
    .kernarg_segment_size: 384
    .language:       OpenCL C
    .language_version:
      - 2
      - 0
    .max_flat_workgroup_size: 512
    .name:           _ZL13mul_mat_f_idsI15__hip_bfloat162Li32ELi3ELi8EEvPKT_PKfPKiS7_S7_Pfiiiiiiiiiiiiii15HIP_vector_typeIjLj3EESA_
    .private_segment_fixed_size: 16
    .sgpr_count:     38
    .sgpr_spill_count: 0
    .symbol:         _ZL13mul_mat_f_idsI15__hip_bfloat162Li32ELi3ELi8EEvPKT_PKfPKiS7_S7_Pfiiiiiiiiiiiiii15HIP_vector_typeIjLj3EESA_.kd
    .uniform_work_group_size: 1
    .uses_dynamic_stack: false
    .vgpr_count:     38
    .vgpr_spill_count: 0
    .wavefront_size: 64
  - .args:
      - .actual_access:  read_only
        .address_space:  global
        .offset:         0
        .size:           8
        .value_kind:     global_buffer
      - .actual_access:  read_only
        .address_space:  global
        .offset:         8
        .size:           8
        .value_kind:     global_buffer
      - .actual_access:  read_only
        .address_space:  global
        .offset:         16
        .size:           8
        .value_kind:     global_buffer
      - .actual_access:  read_only
        .address_space:  global
        .offset:         24
        .size:           8
        .value_kind:     global_buffer
      - .offset:         32
        .size:           4
        .value_kind:     by_value
      - .offset:         36
        .size:           4
        .value_kind:     by_value
      - .offset:         40
        .size:           4
        .value_kind:     by_value
      - .offset:         44
        .size:           4
        .value_kind:     by_value
      - .offset:         48
        .size:           4
        .value_kind:     by_value
      - .offset:         52
        .size:           4
        .value_kind:     by_value
      - .offset:         56
        .size:           4
        .value_kind:     by_value
      - .offset:         60
        .size:           4
        .value_kind:     by_value
      - .offset:         64
        .size:           4
        .value_kind:     by_value
      - .offset:         68
        .size:           4
        .value_kind:     by_value
      - .offset:         72
        .size:           4
        .value_kind:     by_value
      - .offset:         76
        .size:           4
        .value_kind:     by_value
      - .offset:         80
        .size:           4
        .value_kind:     by_value
      - .offset:         84
        .size:           4
        .value_kind:     by_value
      - .offset:         88
        .size:           4
        .value_kind:     by_value
      - .offset:         92
        .size:           4
        .value_kind:     by_value
      - .offset:         96
        .size:           4
        .value_kind:     hidden_block_count_x
      - .offset:         100
        .size:           4
        .value_kind:     hidden_block_count_y
      - .offset:         104
        .size:           4
        .value_kind:     hidden_block_count_z
      - .offset:         108
        .size:           2
        .value_kind:     hidden_group_size_x
      - .offset:         110
        .size:           2
        .value_kind:     hidden_group_size_y
      - .offset:         112
        .size:           2
        .value_kind:     hidden_group_size_z
      - .offset:         114
        .size:           2
        .value_kind:     hidden_remainder_x
      - .offset:         116
        .size:           2
        .value_kind:     hidden_remainder_y
      - .offset:         118
        .size:           2
        .value_kind:     hidden_remainder_z
      - .offset:         136
        .size:           8
        .value_kind:     hidden_global_offset_x
      - .offset:         144
        .size:           8
        .value_kind:     hidden_global_offset_y
      - .offset:         152
        .size:           8
        .value_kind:     hidden_global_offset_z
      - .offset:         160
        .size:           2
        .value_kind:     hidden_grid_dims
      - .offset:         176
        .size:           8
        .value_kind:     hidden_hostcall_buffer
    .group_segment_fixed_size: 0
    .kernarg_segment_align: 8
    .kernarg_segment_size: 352
    .language:       OpenCL C
    .language_version:
      - 2
      - 0
    .max_flat_workgroup_size: 512
    .name:           _ZL9mul_mat_fI15__hip_bfloat162Li32ELi3ELi8ELb1EEvPKT_PKfPKiPfiiiiiiiiiiiiiiii
    .private_segment_fixed_size: 16
    .sgpr_count:     38
    .sgpr_spill_count: 0
    .symbol:         _ZL9mul_mat_fI15__hip_bfloat162Li32ELi3ELi8ELb1EEvPKT_PKfPKiPfiiiiiiiiiiiiiiii.kd
    .uniform_work_group_size: 1
    .uses_dynamic_stack: false
    .vgpr_count:     38
    .vgpr_spill_count: 0
    .wavefront_size: 64
  - .args:
      - .actual_access:  read_only
        .address_space:  global
        .offset:         0
        .size:           8
        .value_kind:     global_buffer
      - .actual_access:  read_only
        .address_space:  global
        .offset:         8
        .size:           8
        .value_kind:     global_buffer
      - .actual_access:  read_only
        .address_space:  global
        .offset:         16
        .size:           8
        .value_kind:     global_buffer
      - .actual_access:  read_only
        .address_space:  global
        .offset:         24
        .size:           8
        .value_kind:     global_buffer
      - .offset:         32
        .size:           4
        .value_kind:     by_value
      - .offset:         36
        .size:           4
        .value_kind:     by_value
      - .offset:         40
        .size:           4
        .value_kind:     by_value
      - .offset:         44
        .size:           4
        .value_kind:     by_value
      - .offset:         48
        .size:           4
        .value_kind:     by_value
      - .offset:         52
        .size:           4
        .value_kind:     by_value
      - .offset:         56
        .size:           4
        .value_kind:     by_value
      - .offset:         60
        .size:           4
        .value_kind:     by_value
      - .offset:         64
        .size:           4
        .value_kind:     by_value
      - .offset:         68
        .size:           4
        .value_kind:     by_value
      - .offset:         72
        .size:           4
        .value_kind:     by_value
      - .offset:         76
        .size:           4
        .value_kind:     by_value
      - .offset:         80
        .size:           4
        .value_kind:     by_value
      - .offset:         84
        .size:           4
        .value_kind:     by_value
      - .offset:         88
        .size:           4
        .value_kind:     by_value
      - .offset:         92
        .size:           4
        .value_kind:     by_value
      - .offset:         96
        .size:           4
        .value_kind:     hidden_block_count_x
      - .offset:         100
        .size:           4
        .value_kind:     hidden_block_count_y
      - .offset:         104
        .size:           4
        .value_kind:     hidden_block_count_z
      - .offset:         108
        .size:           2
        .value_kind:     hidden_group_size_x
      - .offset:         110
        .size:           2
        .value_kind:     hidden_group_size_y
      - .offset:         112
        .size:           2
        .value_kind:     hidden_group_size_z
      - .offset:         114
        .size:           2
        .value_kind:     hidden_remainder_x
      - .offset:         116
        .size:           2
        .value_kind:     hidden_remainder_y
      - .offset:         118
        .size:           2
        .value_kind:     hidden_remainder_z
      - .offset:         136
        .size:           8
        .value_kind:     hidden_global_offset_x
      - .offset:         144
        .size:           8
        .value_kind:     hidden_global_offset_y
      - .offset:         152
        .size:           8
        .value_kind:     hidden_global_offset_z
      - .offset:         160
        .size:           2
        .value_kind:     hidden_grid_dims
      - .offset:         176
        .size:           8
        .value_kind:     hidden_hostcall_buffer
    .group_segment_fixed_size: 0
    .kernarg_segment_align: 8
    .kernarg_segment_size: 352
    .language:       OpenCL C
    .language_version:
      - 2
      - 0
    .max_flat_workgroup_size: 512
    .name:           _ZL9mul_mat_fI15__hip_bfloat162Li32ELi3ELi8ELb0EEvPKT_PKfPKiPfiiiiiiiiiiiiiiii
    .private_segment_fixed_size: 16
    .sgpr_count:     38
    .sgpr_spill_count: 0
    .symbol:         _ZL9mul_mat_fI15__hip_bfloat162Li32ELi3ELi8ELb0EEvPKT_PKfPKiPfiiiiiiiiiiiiiiii.kd
    .uniform_work_group_size: 1
    .uses_dynamic_stack: false
    .vgpr_count:     38
    .vgpr_spill_count: 0
    .wavefront_size: 64
  - .args:
      - .actual_access:  read_only
        .address_space:  global
        .offset:         0
        .size:           8
        .value_kind:     global_buffer
      - .actual_access:  read_only
        .address_space:  global
        .offset:         8
        .size:           8
        .value_kind:     global_buffer
      - .actual_access:  read_only
        .address_space:  global
        .offset:         16
        .size:           8
        .value_kind:     global_buffer
      - .actual_access:  read_only
        .address_space:  global
        .offset:         24
        .size:           8
        .value_kind:     global_buffer
      - .actual_access:  read_only
        .address_space:  global
        .offset:         32
        .size:           8
        .value_kind:     global_buffer
      - .actual_access:  read_only
        .address_space:  global
        .offset:         40
        .size:           8
        .value_kind:     global_buffer
      - .offset:         48
        .size:           4
        .value_kind:     by_value
      - .offset:         52
        .size:           4
        .value_kind:     by_value
      - .offset:         56
        .size:           4
        .value_kind:     by_value
      - .offset:         60
        .size:           4
        .value_kind:     by_value
      - .offset:         64
        .size:           4
        .value_kind:     by_value
      - .offset:         68
        .size:           4
        .value_kind:     by_value
      - .offset:         72
        .size:           4
        .value_kind:     by_value
      - .offset:         76
        .size:           4
        .value_kind:     by_value
      - .offset:         80
        .size:           4
        .value_kind:     by_value
      - .offset:         84
        .size:           4
        .value_kind:     by_value
      - .offset:         88
        .size:           4
        .value_kind:     by_value
      - .offset:         92
        .size:           4
        .value_kind:     by_value
      - .offset:         96
        .size:           4
        .value_kind:     by_value
      - .offset:         100
        .size:           4
        .value_kind:     by_value
      - .offset:         104
        .size:           12
        .value_kind:     by_value
      - .offset:         116
        .size:           12
        .value_kind:     by_value
      - .offset:         128
        .size:           4
        .value_kind:     hidden_block_count_x
      - .offset:         132
        .size:           4
        .value_kind:     hidden_block_count_y
      - .offset:         136
        .size:           4
        .value_kind:     hidden_block_count_z
      - .offset:         140
        .size:           2
        .value_kind:     hidden_group_size_x
      - .offset:         142
        .size:           2
        .value_kind:     hidden_group_size_y
      - .offset:         144
        .size:           2
        .value_kind:     hidden_group_size_z
      - .offset:         146
        .size:           2
        .value_kind:     hidden_remainder_x
      - .offset:         148
        .size:           2
        .value_kind:     hidden_remainder_y
      - .offset:         150
        .size:           2
        .value_kind:     hidden_remainder_z
      - .offset:         168
        .size:           8
        .value_kind:     hidden_global_offset_x
      - .offset:         176
        .size:           8
        .value_kind:     hidden_global_offset_y
      - .offset:         184
        .size:           8
        .value_kind:     hidden_global_offset_z
      - .offset:         192
        .size:           2
        .value_kind:     hidden_grid_dims
      - .offset:         208
        .size:           8
        .value_kind:     hidden_hostcall_buffer
    .group_segment_fixed_size: 0
    .kernarg_segment_align: 8
    .kernarg_segment_size: 384
    .language:       OpenCL C
    .language_version:
      - 2
      - 0
    .max_flat_workgroup_size: 64
    .name:           _ZL13mul_mat_f_idsIfLi64ELi3ELi1EEvPKT_PKfPKiS6_S6_Pfiiiiiiiiiiiiii15HIP_vector_typeIjLj3EES9_
    .private_segment_fixed_size: 16
    .sgpr_count:     38
    .sgpr_spill_count: 0
    .symbol:         _ZL13mul_mat_f_idsIfLi64ELi3ELi1EEvPKT_PKfPKiS6_S6_Pfiiiiiiiiiiiiii15HIP_vector_typeIjLj3EES9_.kd
    .uniform_work_group_size: 1
    .uses_dynamic_stack: false
    .vgpr_count:     38
    .vgpr_spill_count: 0
    .wavefront_size: 64
  - .args:
      - .actual_access:  read_only
        .address_space:  global
        .offset:         0
        .size:           8
        .value_kind:     global_buffer
      - .actual_access:  read_only
        .address_space:  global
        .offset:         8
        .size:           8
        .value_kind:     global_buffer
      - .actual_access:  read_only
        .address_space:  global
        .offset:         16
        .size:           8
        .value_kind:     global_buffer
      - .actual_access:  read_only
        .address_space:  global
        .offset:         24
        .size:           8
        .value_kind:     global_buffer
      - .offset:         32
        .size:           4
        .value_kind:     by_value
      - .offset:         36
        .size:           4
        .value_kind:     by_value
      - .offset:         40
        .size:           4
        .value_kind:     by_value
      - .offset:         44
        .size:           4
        .value_kind:     by_value
      - .offset:         48
        .size:           4
        .value_kind:     by_value
      - .offset:         52
        .size:           4
        .value_kind:     by_value
      - .offset:         56
        .size:           4
        .value_kind:     by_value
      - .offset:         60
        .size:           4
        .value_kind:     by_value
      - .offset:         64
        .size:           4
        .value_kind:     by_value
      - .offset:         68
        .size:           4
        .value_kind:     by_value
      - .offset:         72
        .size:           4
        .value_kind:     by_value
      - .offset:         76
        .size:           4
        .value_kind:     by_value
      - .offset:         80
        .size:           4
        .value_kind:     by_value
      - .offset:         84
        .size:           4
        .value_kind:     by_value
      - .offset:         88
        .size:           4
        .value_kind:     by_value
      - .offset:         92
        .size:           4
        .value_kind:     by_value
      - .offset:         96
        .size:           4
        .value_kind:     hidden_block_count_x
      - .offset:         100
        .size:           4
        .value_kind:     hidden_block_count_y
      - .offset:         104
        .size:           4
        .value_kind:     hidden_block_count_z
      - .offset:         108
        .size:           2
        .value_kind:     hidden_group_size_x
      - .offset:         110
        .size:           2
        .value_kind:     hidden_group_size_y
      - .offset:         112
        .size:           2
        .value_kind:     hidden_group_size_z
      - .offset:         114
        .size:           2
        .value_kind:     hidden_remainder_x
      - .offset:         116
        .size:           2
        .value_kind:     hidden_remainder_y
      - .offset:         118
        .size:           2
        .value_kind:     hidden_remainder_z
      - .offset:         136
        .size:           8
        .value_kind:     hidden_global_offset_x
      - .offset:         144
        .size:           8
        .value_kind:     hidden_global_offset_y
      - .offset:         152
        .size:           8
        .value_kind:     hidden_global_offset_z
      - .offset:         160
        .size:           2
        .value_kind:     hidden_grid_dims
      - .offset:         176
        .size:           8
        .value_kind:     hidden_hostcall_buffer
    .group_segment_fixed_size: 0
    .kernarg_segment_align: 8
    .kernarg_segment_size: 352
    .language:       OpenCL C
    .language_version:
      - 2
      - 0
    .max_flat_workgroup_size: 64
    .name:           _ZL9mul_mat_fIfLi64ELi3ELi1ELb1EEvPKT_PKfPKiPfiiiiiiiiiiiiiiii
    .private_segment_fixed_size: 16
    .sgpr_count:     38
    .sgpr_spill_count: 0
    .symbol:         _ZL9mul_mat_fIfLi64ELi3ELi1ELb1EEvPKT_PKfPKiPfiiiiiiiiiiiiiiii.kd
    .uniform_work_group_size: 1
    .uses_dynamic_stack: false
    .vgpr_count:     38
    .vgpr_spill_count: 0
    .wavefront_size: 64
  - .args:
      - .actual_access:  read_only
        .address_space:  global
        .offset:         0
        .size:           8
        .value_kind:     global_buffer
      - .actual_access:  read_only
        .address_space:  global
        .offset:         8
        .size:           8
        .value_kind:     global_buffer
      - .actual_access:  read_only
        .address_space:  global
        .offset:         16
        .size:           8
        .value_kind:     global_buffer
      - .actual_access:  read_only
        .address_space:  global
        .offset:         24
        .size:           8
        .value_kind:     global_buffer
      - .offset:         32
        .size:           4
        .value_kind:     by_value
      - .offset:         36
        .size:           4
        .value_kind:     by_value
      - .offset:         40
        .size:           4
        .value_kind:     by_value
      - .offset:         44
        .size:           4
        .value_kind:     by_value
      - .offset:         48
        .size:           4
        .value_kind:     by_value
      - .offset:         52
        .size:           4
        .value_kind:     by_value
      - .offset:         56
        .size:           4
        .value_kind:     by_value
      - .offset:         60
        .size:           4
        .value_kind:     by_value
      - .offset:         64
        .size:           4
        .value_kind:     by_value
      - .offset:         68
        .size:           4
        .value_kind:     by_value
      - .offset:         72
        .size:           4
        .value_kind:     by_value
      - .offset:         76
        .size:           4
        .value_kind:     by_value
      - .offset:         80
        .size:           4
        .value_kind:     by_value
      - .offset:         84
        .size:           4
        .value_kind:     by_value
      - .offset:         88
        .size:           4
        .value_kind:     by_value
      - .offset:         92
        .size:           4
        .value_kind:     by_value
      - .offset:         96
        .size:           4
        .value_kind:     hidden_block_count_x
      - .offset:         100
        .size:           4
        .value_kind:     hidden_block_count_y
      - .offset:         104
        .size:           4
        .value_kind:     hidden_block_count_z
      - .offset:         108
        .size:           2
        .value_kind:     hidden_group_size_x
      - .offset:         110
        .size:           2
        .value_kind:     hidden_group_size_y
      - .offset:         112
        .size:           2
        .value_kind:     hidden_group_size_z
      - .offset:         114
        .size:           2
        .value_kind:     hidden_remainder_x
      - .offset:         116
        .size:           2
        .value_kind:     hidden_remainder_y
      - .offset:         118
        .size:           2
        .value_kind:     hidden_remainder_z
      - .offset:         136
        .size:           8
        .value_kind:     hidden_global_offset_x
      - .offset:         144
        .size:           8
        .value_kind:     hidden_global_offset_y
      - .offset:         152
        .size:           8
        .value_kind:     hidden_global_offset_z
      - .offset:         160
        .size:           2
        .value_kind:     hidden_grid_dims
      - .offset:         176
        .size:           8
        .value_kind:     hidden_hostcall_buffer
    .group_segment_fixed_size: 0
    .kernarg_segment_align: 8
    .kernarg_segment_size: 352
    .language:       OpenCL C
    .language_version:
      - 2
      - 0
    .max_flat_workgroup_size: 64
    .name:           _ZL9mul_mat_fIfLi64ELi3ELi1ELb0EEvPKT_PKfPKiPfiiiiiiiiiiiiiiii
    .private_segment_fixed_size: 16
    .sgpr_count:     38
    .sgpr_spill_count: 0
    .symbol:         _ZL9mul_mat_fIfLi64ELi3ELi1ELb0EEvPKT_PKfPKiPfiiiiiiiiiiiiiiii.kd
    .uniform_work_group_size: 1
    .uses_dynamic_stack: false
    .vgpr_count:     38
    .vgpr_spill_count: 0
    .wavefront_size: 64
  - .args:
      - .actual_access:  read_only
        .address_space:  global
        .offset:         0
        .size:           8
        .value_kind:     global_buffer
      - .actual_access:  read_only
        .address_space:  global
        .offset:         8
        .size:           8
        .value_kind:     global_buffer
      - .actual_access:  read_only
        .address_space:  global
        .offset:         16
        .size:           8
        .value_kind:     global_buffer
      - .actual_access:  read_only
        .address_space:  global
        .offset:         24
        .size:           8
        .value_kind:     global_buffer
      - .actual_access:  read_only
        .address_space:  global
        .offset:         32
        .size:           8
        .value_kind:     global_buffer
      - .actual_access:  read_only
        .address_space:  global
        .offset:         40
        .size:           8
        .value_kind:     global_buffer
      - .offset:         48
        .size:           4
        .value_kind:     by_value
      - .offset:         52
        .size:           4
        .value_kind:     by_value
      - .offset:         56
        .size:           4
        .value_kind:     by_value
      - .offset:         60
        .size:           4
        .value_kind:     by_value
      - .offset:         64
        .size:           4
        .value_kind:     by_value
      - .offset:         68
        .size:           4
        .value_kind:     by_value
      - .offset:         72
        .size:           4
        .value_kind:     by_value
      - .offset:         76
        .size:           4
        .value_kind:     by_value
      - .offset:         80
        .size:           4
        .value_kind:     by_value
      - .offset:         84
        .size:           4
        .value_kind:     by_value
      - .offset:         88
        .size:           4
        .value_kind:     by_value
      - .offset:         92
        .size:           4
        .value_kind:     by_value
      - .offset:         96
        .size:           4
        .value_kind:     by_value
      - .offset:         100
        .size:           4
        .value_kind:     by_value
      - .offset:         104
        .size:           12
        .value_kind:     by_value
      - .offset:         116
        .size:           12
        .value_kind:     by_value
      - .offset:         128
        .size:           4
        .value_kind:     hidden_block_count_x
      - .offset:         132
        .size:           4
        .value_kind:     hidden_block_count_y
      - .offset:         136
        .size:           4
        .value_kind:     hidden_block_count_z
      - .offset:         140
        .size:           2
        .value_kind:     hidden_group_size_x
      - .offset:         142
        .size:           2
        .value_kind:     hidden_group_size_y
      - .offset:         144
        .size:           2
        .value_kind:     hidden_group_size_z
      - .offset:         146
        .size:           2
        .value_kind:     hidden_remainder_x
      - .offset:         148
        .size:           2
        .value_kind:     hidden_remainder_y
      - .offset:         150
        .size:           2
        .value_kind:     hidden_remainder_z
      - .offset:         168
        .size:           8
        .value_kind:     hidden_global_offset_x
      - .offset:         176
        .size:           8
        .value_kind:     hidden_global_offset_y
      - .offset:         184
        .size:           8
        .value_kind:     hidden_global_offset_z
      - .offset:         192
        .size:           2
        .value_kind:     hidden_grid_dims
      - .offset:         208
        .size:           8
        .value_kind:     hidden_hostcall_buffer
    .group_segment_fixed_size: 0
    .kernarg_segment_align: 8
    .kernarg_segment_size: 384
    .language:       OpenCL C
    .language_version:
      - 2
      - 0
    .max_flat_workgroup_size: 128
    .name:           _ZL13mul_mat_f_idsIfLi64ELi3ELi2EEvPKT_PKfPKiS6_S6_Pfiiiiiiiiiiiiii15HIP_vector_typeIjLj3EES9_
    .private_segment_fixed_size: 16
    .sgpr_count:     38
    .sgpr_spill_count: 0
    .symbol:         _ZL13mul_mat_f_idsIfLi64ELi3ELi2EEvPKT_PKfPKiS6_S6_Pfiiiiiiiiiiiiii15HIP_vector_typeIjLj3EES9_.kd
    .uniform_work_group_size: 1
    .uses_dynamic_stack: false
    .vgpr_count:     38
    .vgpr_spill_count: 0
    .wavefront_size: 64
  - .args:
      - .actual_access:  read_only
        .address_space:  global
        .offset:         0
        .size:           8
        .value_kind:     global_buffer
      - .actual_access:  read_only
        .address_space:  global
        .offset:         8
        .size:           8
        .value_kind:     global_buffer
      - .actual_access:  read_only
        .address_space:  global
        .offset:         16
        .size:           8
        .value_kind:     global_buffer
      - .actual_access:  read_only
        .address_space:  global
        .offset:         24
        .size:           8
        .value_kind:     global_buffer
      - .offset:         32
        .size:           4
        .value_kind:     by_value
      - .offset:         36
        .size:           4
        .value_kind:     by_value
      - .offset:         40
        .size:           4
        .value_kind:     by_value
      - .offset:         44
        .size:           4
        .value_kind:     by_value
      - .offset:         48
        .size:           4
        .value_kind:     by_value
      - .offset:         52
        .size:           4
        .value_kind:     by_value
      - .offset:         56
        .size:           4
        .value_kind:     by_value
      - .offset:         60
        .size:           4
        .value_kind:     by_value
      - .offset:         64
        .size:           4
        .value_kind:     by_value
      - .offset:         68
        .size:           4
        .value_kind:     by_value
      - .offset:         72
        .size:           4
        .value_kind:     by_value
      - .offset:         76
        .size:           4
        .value_kind:     by_value
      - .offset:         80
        .size:           4
        .value_kind:     by_value
      - .offset:         84
        .size:           4
        .value_kind:     by_value
      - .offset:         88
        .size:           4
        .value_kind:     by_value
      - .offset:         92
        .size:           4
        .value_kind:     by_value
      - .offset:         96
        .size:           4
        .value_kind:     hidden_block_count_x
      - .offset:         100
        .size:           4
        .value_kind:     hidden_block_count_y
      - .offset:         104
        .size:           4
        .value_kind:     hidden_block_count_z
      - .offset:         108
        .size:           2
        .value_kind:     hidden_group_size_x
      - .offset:         110
        .size:           2
        .value_kind:     hidden_group_size_y
      - .offset:         112
        .size:           2
        .value_kind:     hidden_group_size_z
      - .offset:         114
        .size:           2
        .value_kind:     hidden_remainder_x
      - .offset:         116
        .size:           2
        .value_kind:     hidden_remainder_y
      - .offset:         118
        .size:           2
        .value_kind:     hidden_remainder_z
      - .offset:         136
        .size:           8
        .value_kind:     hidden_global_offset_x
      - .offset:         144
        .size:           8
        .value_kind:     hidden_global_offset_y
      - .offset:         152
        .size:           8
        .value_kind:     hidden_global_offset_z
      - .offset:         160
        .size:           2
        .value_kind:     hidden_grid_dims
      - .offset:         176
        .size:           8
        .value_kind:     hidden_hostcall_buffer
    .group_segment_fixed_size: 0
    .kernarg_segment_align: 8
    .kernarg_segment_size: 352
    .language:       OpenCL C
    .language_version:
      - 2
      - 0
    .max_flat_workgroup_size: 128
    .name:           _ZL9mul_mat_fIfLi64ELi3ELi2ELb1EEvPKT_PKfPKiPfiiiiiiiiiiiiiiii
    .private_segment_fixed_size: 16
    .sgpr_count:     38
    .sgpr_spill_count: 0
    .symbol:         _ZL9mul_mat_fIfLi64ELi3ELi2ELb1EEvPKT_PKfPKiPfiiiiiiiiiiiiiiii.kd
    .uniform_work_group_size: 1
    .uses_dynamic_stack: false
    .vgpr_count:     38
    .vgpr_spill_count: 0
    .wavefront_size: 64
  - .args:
      - .actual_access:  read_only
        .address_space:  global
        .offset:         0
        .size:           8
        .value_kind:     global_buffer
      - .actual_access:  read_only
        .address_space:  global
        .offset:         8
        .size:           8
        .value_kind:     global_buffer
      - .actual_access:  read_only
        .address_space:  global
        .offset:         16
        .size:           8
        .value_kind:     global_buffer
      - .actual_access:  read_only
        .address_space:  global
        .offset:         24
        .size:           8
        .value_kind:     global_buffer
      - .offset:         32
        .size:           4
        .value_kind:     by_value
      - .offset:         36
        .size:           4
        .value_kind:     by_value
      - .offset:         40
        .size:           4
        .value_kind:     by_value
      - .offset:         44
        .size:           4
        .value_kind:     by_value
      - .offset:         48
        .size:           4
        .value_kind:     by_value
      - .offset:         52
        .size:           4
        .value_kind:     by_value
      - .offset:         56
        .size:           4
        .value_kind:     by_value
      - .offset:         60
        .size:           4
        .value_kind:     by_value
      - .offset:         64
        .size:           4
        .value_kind:     by_value
      - .offset:         68
        .size:           4
        .value_kind:     by_value
      - .offset:         72
        .size:           4
        .value_kind:     by_value
      - .offset:         76
        .size:           4
        .value_kind:     by_value
      - .offset:         80
        .size:           4
        .value_kind:     by_value
      - .offset:         84
        .size:           4
        .value_kind:     by_value
      - .offset:         88
        .size:           4
        .value_kind:     by_value
      - .offset:         92
        .size:           4
        .value_kind:     by_value
      - .offset:         96
        .size:           4
        .value_kind:     hidden_block_count_x
      - .offset:         100
        .size:           4
        .value_kind:     hidden_block_count_y
      - .offset:         104
        .size:           4
        .value_kind:     hidden_block_count_z
      - .offset:         108
        .size:           2
        .value_kind:     hidden_group_size_x
      - .offset:         110
        .size:           2
        .value_kind:     hidden_group_size_y
      - .offset:         112
        .size:           2
        .value_kind:     hidden_group_size_z
      - .offset:         114
        .size:           2
        .value_kind:     hidden_remainder_x
      - .offset:         116
        .size:           2
        .value_kind:     hidden_remainder_y
      - .offset:         118
        .size:           2
        .value_kind:     hidden_remainder_z
      - .offset:         136
        .size:           8
        .value_kind:     hidden_global_offset_x
      - .offset:         144
        .size:           8
        .value_kind:     hidden_global_offset_y
      - .offset:         152
        .size:           8
        .value_kind:     hidden_global_offset_z
      - .offset:         160
        .size:           2
        .value_kind:     hidden_grid_dims
      - .offset:         176
        .size:           8
        .value_kind:     hidden_hostcall_buffer
    .group_segment_fixed_size: 0
    .kernarg_segment_align: 8
    .kernarg_segment_size: 352
    .language:       OpenCL C
    .language_version:
      - 2
      - 0
    .max_flat_workgroup_size: 128
    .name:           _ZL9mul_mat_fIfLi64ELi3ELi2ELb0EEvPKT_PKfPKiPfiiiiiiiiiiiiiiii
    .private_segment_fixed_size: 16
    .sgpr_count:     38
    .sgpr_spill_count: 0
    .symbol:         _ZL9mul_mat_fIfLi64ELi3ELi2ELb0EEvPKT_PKfPKiPfiiiiiiiiiiiiiiii.kd
    .uniform_work_group_size: 1
    .uses_dynamic_stack: false
    .vgpr_count:     38
    .vgpr_spill_count: 0
    .wavefront_size: 64
  - .args:
      - .actual_access:  read_only
        .address_space:  global
        .offset:         0
        .size:           8
        .value_kind:     global_buffer
      - .actual_access:  read_only
        .address_space:  global
        .offset:         8
        .size:           8
        .value_kind:     global_buffer
      - .actual_access:  read_only
        .address_space:  global
        .offset:         16
        .size:           8
        .value_kind:     global_buffer
      - .actual_access:  read_only
        .address_space:  global
        .offset:         24
        .size:           8
        .value_kind:     global_buffer
      - .actual_access:  read_only
        .address_space:  global
        .offset:         32
        .size:           8
        .value_kind:     global_buffer
      - .actual_access:  read_only
        .address_space:  global
        .offset:         40
        .size:           8
        .value_kind:     global_buffer
      - .offset:         48
        .size:           4
        .value_kind:     by_value
      - .offset:         52
        .size:           4
        .value_kind:     by_value
      - .offset:         56
        .size:           4
        .value_kind:     by_value
      - .offset:         60
        .size:           4
        .value_kind:     by_value
      - .offset:         64
        .size:           4
        .value_kind:     by_value
      - .offset:         68
        .size:           4
        .value_kind:     by_value
      - .offset:         72
        .size:           4
        .value_kind:     by_value
      - .offset:         76
        .size:           4
        .value_kind:     by_value
      - .offset:         80
        .size:           4
        .value_kind:     by_value
      - .offset:         84
        .size:           4
        .value_kind:     by_value
      - .offset:         88
        .size:           4
        .value_kind:     by_value
      - .offset:         92
        .size:           4
        .value_kind:     by_value
      - .offset:         96
        .size:           4
        .value_kind:     by_value
      - .offset:         100
        .size:           4
        .value_kind:     by_value
      - .offset:         104
        .size:           12
        .value_kind:     by_value
      - .offset:         116
        .size:           12
        .value_kind:     by_value
      - .offset:         128
        .size:           4
        .value_kind:     hidden_block_count_x
      - .offset:         132
        .size:           4
        .value_kind:     hidden_block_count_y
      - .offset:         136
        .size:           4
        .value_kind:     hidden_block_count_z
      - .offset:         140
        .size:           2
        .value_kind:     hidden_group_size_x
      - .offset:         142
        .size:           2
        .value_kind:     hidden_group_size_y
      - .offset:         144
        .size:           2
        .value_kind:     hidden_group_size_z
      - .offset:         146
        .size:           2
        .value_kind:     hidden_remainder_x
      - .offset:         148
        .size:           2
        .value_kind:     hidden_remainder_y
      - .offset:         150
        .size:           2
        .value_kind:     hidden_remainder_z
      - .offset:         168
        .size:           8
        .value_kind:     hidden_global_offset_x
      - .offset:         176
        .size:           8
        .value_kind:     hidden_global_offset_y
      - .offset:         184
        .size:           8
        .value_kind:     hidden_global_offset_z
      - .offset:         192
        .size:           2
        .value_kind:     hidden_grid_dims
      - .offset:         208
        .size:           8
        .value_kind:     hidden_hostcall_buffer
    .group_segment_fixed_size: 0
    .kernarg_segment_align: 8
    .kernarg_segment_size: 384
    .language:       OpenCL C
    .language_version:
      - 2
      - 0
    .max_flat_workgroup_size: 192
    .name:           _ZL13mul_mat_f_idsIfLi64ELi3ELi3EEvPKT_PKfPKiS6_S6_Pfiiiiiiiiiiiiii15HIP_vector_typeIjLj3EES9_
    .private_segment_fixed_size: 16
    .sgpr_count:     38
    .sgpr_spill_count: 0
    .symbol:         _ZL13mul_mat_f_idsIfLi64ELi3ELi3EEvPKT_PKfPKiS6_S6_Pfiiiiiiiiiiiiii15HIP_vector_typeIjLj3EES9_.kd
    .uniform_work_group_size: 1
    .uses_dynamic_stack: false
    .vgpr_count:     38
    .vgpr_spill_count: 0
    .wavefront_size: 64
  - .args:
      - .actual_access:  read_only
        .address_space:  global
        .offset:         0
        .size:           8
        .value_kind:     global_buffer
      - .actual_access:  read_only
        .address_space:  global
        .offset:         8
        .size:           8
        .value_kind:     global_buffer
      - .actual_access:  read_only
        .address_space:  global
        .offset:         16
        .size:           8
        .value_kind:     global_buffer
      - .actual_access:  read_only
        .address_space:  global
        .offset:         24
        .size:           8
        .value_kind:     global_buffer
      - .offset:         32
        .size:           4
        .value_kind:     by_value
      - .offset:         36
        .size:           4
        .value_kind:     by_value
      - .offset:         40
        .size:           4
        .value_kind:     by_value
      - .offset:         44
        .size:           4
        .value_kind:     by_value
      - .offset:         48
        .size:           4
        .value_kind:     by_value
      - .offset:         52
        .size:           4
        .value_kind:     by_value
      - .offset:         56
        .size:           4
        .value_kind:     by_value
      - .offset:         60
        .size:           4
        .value_kind:     by_value
      - .offset:         64
        .size:           4
        .value_kind:     by_value
      - .offset:         68
        .size:           4
        .value_kind:     by_value
      - .offset:         72
        .size:           4
        .value_kind:     by_value
      - .offset:         76
        .size:           4
        .value_kind:     by_value
      - .offset:         80
        .size:           4
        .value_kind:     by_value
      - .offset:         84
        .size:           4
        .value_kind:     by_value
      - .offset:         88
        .size:           4
        .value_kind:     by_value
      - .offset:         92
        .size:           4
        .value_kind:     by_value
      - .offset:         96
        .size:           4
        .value_kind:     hidden_block_count_x
      - .offset:         100
        .size:           4
        .value_kind:     hidden_block_count_y
      - .offset:         104
        .size:           4
        .value_kind:     hidden_block_count_z
      - .offset:         108
        .size:           2
        .value_kind:     hidden_group_size_x
      - .offset:         110
        .size:           2
        .value_kind:     hidden_group_size_y
      - .offset:         112
        .size:           2
        .value_kind:     hidden_group_size_z
      - .offset:         114
        .size:           2
        .value_kind:     hidden_remainder_x
      - .offset:         116
        .size:           2
        .value_kind:     hidden_remainder_y
      - .offset:         118
        .size:           2
        .value_kind:     hidden_remainder_z
      - .offset:         136
        .size:           8
        .value_kind:     hidden_global_offset_x
      - .offset:         144
        .size:           8
        .value_kind:     hidden_global_offset_y
      - .offset:         152
        .size:           8
        .value_kind:     hidden_global_offset_z
      - .offset:         160
        .size:           2
        .value_kind:     hidden_grid_dims
      - .offset:         176
        .size:           8
        .value_kind:     hidden_hostcall_buffer
    .group_segment_fixed_size: 0
    .kernarg_segment_align: 8
    .kernarg_segment_size: 352
    .language:       OpenCL C
    .language_version:
      - 2
      - 0
    .max_flat_workgroup_size: 192
    .name:           _ZL9mul_mat_fIfLi64ELi3ELi3ELb1EEvPKT_PKfPKiPfiiiiiiiiiiiiiiii
    .private_segment_fixed_size: 16
    .sgpr_count:     38
    .sgpr_spill_count: 0
    .symbol:         _ZL9mul_mat_fIfLi64ELi3ELi3ELb1EEvPKT_PKfPKiPfiiiiiiiiiiiiiiii.kd
    .uniform_work_group_size: 1
    .uses_dynamic_stack: false
    .vgpr_count:     38
    .vgpr_spill_count: 0
    .wavefront_size: 64
  - .args:
      - .actual_access:  read_only
        .address_space:  global
        .offset:         0
        .size:           8
        .value_kind:     global_buffer
      - .actual_access:  read_only
        .address_space:  global
        .offset:         8
        .size:           8
        .value_kind:     global_buffer
      - .actual_access:  read_only
        .address_space:  global
        .offset:         16
        .size:           8
        .value_kind:     global_buffer
      - .actual_access:  read_only
        .address_space:  global
        .offset:         24
        .size:           8
        .value_kind:     global_buffer
      - .offset:         32
        .size:           4
        .value_kind:     by_value
      - .offset:         36
        .size:           4
        .value_kind:     by_value
      - .offset:         40
        .size:           4
        .value_kind:     by_value
      - .offset:         44
        .size:           4
        .value_kind:     by_value
      - .offset:         48
        .size:           4
        .value_kind:     by_value
      - .offset:         52
        .size:           4
        .value_kind:     by_value
      - .offset:         56
        .size:           4
        .value_kind:     by_value
      - .offset:         60
        .size:           4
        .value_kind:     by_value
      - .offset:         64
        .size:           4
        .value_kind:     by_value
      - .offset:         68
        .size:           4
        .value_kind:     by_value
      - .offset:         72
        .size:           4
        .value_kind:     by_value
      - .offset:         76
        .size:           4
        .value_kind:     by_value
      - .offset:         80
        .size:           4
        .value_kind:     by_value
      - .offset:         84
        .size:           4
        .value_kind:     by_value
      - .offset:         88
        .size:           4
        .value_kind:     by_value
      - .offset:         92
        .size:           4
        .value_kind:     by_value
      - .offset:         96
        .size:           4
        .value_kind:     hidden_block_count_x
      - .offset:         100
        .size:           4
        .value_kind:     hidden_block_count_y
      - .offset:         104
        .size:           4
        .value_kind:     hidden_block_count_z
      - .offset:         108
        .size:           2
        .value_kind:     hidden_group_size_x
      - .offset:         110
        .size:           2
        .value_kind:     hidden_group_size_y
      - .offset:         112
        .size:           2
        .value_kind:     hidden_group_size_z
      - .offset:         114
        .size:           2
        .value_kind:     hidden_remainder_x
      - .offset:         116
        .size:           2
        .value_kind:     hidden_remainder_y
      - .offset:         118
        .size:           2
        .value_kind:     hidden_remainder_z
      - .offset:         136
        .size:           8
        .value_kind:     hidden_global_offset_x
      - .offset:         144
        .size:           8
        .value_kind:     hidden_global_offset_y
      - .offset:         152
        .size:           8
        .value_kind:     hidden_global_offset_z
      - .offset:         160
        .size:           2
        .value_kind:     hidden_grid_dims
      - .offset:         176
        .size:           8
        .value_kind:     hidden_hostcall_buffer
    .group_segment_fixed_size: 0
    .kernarg_segment_align: 8
    .kernarg_segment_size: 352
    .language:       OpenCL C
    .language_version:
      - 2
      - 0
    .max_flat_workgroup_size: 192
    .name:           _ZL9mul_mat_fIfLi64ELi3ELi3ELb0EEvPKT_PKfPKiPfiiiiiiiiiiiiiiii
    .private_segment_fixed_size: 16
    .sgpr_count:     38
    .sgpr_spill_count: 0
    .symbol:         _ZL9mul_mat_fIfLi64ELi3ELi3ELb0EEvPKT_PKfPKiPfiiiiiiiiiiiiiiii.kd
    .uniform_work_group_size: 1
    .uses_dynamic_stack: false
    .vgpr_count:     38
    .vgpr_spill_count: 0
    .wavefront_size: 64
  - .args:
      - .actual_access:  read_only
        .address_space:  global
        .offset:         0
        .size:           8
        .value_kind:     global_buffer
      - .actual_access:  read_only
        .address_space:  global
        .offset:         8
        .size:           8
        .value_kind:     global_buffer
      - .actual_access:  read_only
        .address_space:  global
        .offset:         16
        .size:           8
        .value_kind:     global_buffer
      - .actual_access:  read_only
        .address_space:  global
        .offset:         24
        .size:           8
        .value_kind:     global_buffer
      - .actual_access:  read_only
        .address_space:  global
        .offset:         32
        .size:           8
        .value_kind:     global_buffer
      - .actual_access:  read_only
        .address_space:  global
        .offset:         40
        .size:           8
        .value_kind:     global_buffer
      - .offset:         48
        .size:           4
        .value_kind:     by_value
      - .offset:         52
        .size:           4
        .value_kind:     by_value
      - .offset:         56
        .size:           4
        .value_kind:     by_value
      - .offset:         60
        .size:           4
        .value_kind:     by_value
      - .offset:         64
        .size:           4
        .value_kind:     by_value
      - .offset:         68
        .size:           4
        .value_kind:     by_value
      - .offset:         72
        .size:           4
        .value_kind:     by_value
      - .offset:         76
        .size:           4
        .value_kind:     by_value
      - .offset:         80
        .size:           4
        .value_kind:     by_value
      - .offset:         84
        .size:           4
        .value_kind:     by_value
      - .offset:         88
        .size:           4
        .value_kind:     by_value
      - .offset:         92
        .size:           4
        .value_kind:     by_value
      - .offset:         96
        .size:           4
        .value_kind:     by_value
      - .offset:         100
        .size:           4
        .value_kind:     by_value
      - .offset:         104
        .size:           12
        .value_kind:     by_value
      - .offset:         116
        .size:           12
        .value_kind:     by_value
      - .offset:         128
        .size:           4
        .value_kind:     hidden_block_count_x
      - .offset:         132
        .size:           4
        .value_kind:     hidden_block_count_y
      - .offset:         136
        .size:           4
        .value_kind:     hidden_block_count_z
      - .offset:         140
        .size:           2
        .value_kind:     hidden_group_size_x
      - .offset:         142
        .size:           2
        .value_kind:     hidden_group_size_y
      - .offset:         144
        .size:           2
        .value_kind:     hidden_group_size_z
      - .offset:         146
        .size:           2
        .value_kind:     hidden_remainder_x
      - .offset:         148
        .size:           2
        .value_kind:     hidden_remainder_y
      - .offset:         150
        .size:           2
        .value_kind:     hidden_remainder_z
      - .offset:         168
        .size:           8
        .value_kind:     hidden_global_offset_x
      - .offset:         176
        .size:           8
        .value_kind:     hidden_global_offset_y
      - .offset:         184
        .size:           8
        .value_kind:     hidden_global_offset_z
      - .offset:         192
        .size:           2
        .value_kind:     hidden_grid_dims
      - .offset:         208
        .size:           8
        .value_kind:     hidden_hostcall_buffer
    .group_segment_fixed_size: 0
    .kernarg_segment_align: 8
    .kernarg_segment_size: 384
    .language:       OpenCL C
    .language_version:
      - 2
      - 0
    .max_flat_workgroup_size: 256
    .name:           _ZL13mul_mat_f_idsIfLi64ELi3ELi4EEvPKT_PKfPKiS6_S6_Pfiiiiiiiiiiiiii15HIP_vector_typeIjLj3EES9_
    .private_segment_fixed_size: 16
    .sgpr_count:     38
    .sgpr_spill_count: 0
    .symbol:         _ZL13mul_mat_f_idsIfLi64ELi3ELi4EEvPKT_PKfPKiS6_S6_Pfiiiiiiiiiiiiii15HIP_vector_typeIjLj3EES9_.kd
    .uniform_work_group_size: 1
    .uses_dynamic_stack: false
    .vgpr_count:     38
    .vgpr_spill_count: 0
    .wavefront_size: 64
  - .args:
      - .actual_access:  read_only
        .address_space:  global
        .offset:         0
        .size:           8
        .value_kind:     global_buffer
      - .actual_access:  read_only
        .address_space:  global
        .offset:         8
        .size:           8
        .value_kind:     global_buffer
      - .actual_access:  read_only
        .address_space:  global
        .offset:         16
        .size:           8
        .value_kind:     global_buffer
      - .actual_access:  read_only
        .address_space:  global
        .offset:         24
        .size:           8
        .value_kind:     global_buffer
      - .offset:         32
        .size:           4
        .value_kind:     by_value
      - .offset:         36
        .size:           4
        .value_kind:     by_value
      - .offset:         40
        .size:           4
        .value_kind:     by_value
      - .offset:         44
        .size:           4
        .value_kind:     by_value
      - .offset:         48
        .size:           4
        .value_kind:     by_value
      - .offset:         52
        .size:           4
        .value_kind:     by_value
      - .offset:         56
        .size:           4
        .value_kind:     by_value
      - .offset:         60
        .size:           4
        .value_kind:     by_value
      - .offset:         64
        .size:           4
        .value_kind:     by_value
      - .offset:         68
        .size:           4
        .value_kind:     by_value
      - .offset:         72
        .size:           4
        .value_kind:     by_value
      - .offset:         76
        .size:           4
        .value_kind:     by_value
      - .offset:         80
        .size:           4
        .value_kind:     by_value
      - .offset:         84
        .size:           4
        .value_kind:     by_value
      - .offset:         88
        .size:           4
        .value_kind:     by_value
      - .offset:         92
        .size:           4
        .value_kind:     by_value
      - .offset:         96
        .size:           4
        .value_kind:     hidden_block_count_x
      - .offset:         100
        .size:           4
        .value_kind:     hidden_block_count_y
      - .offset:         104
        .size:           4
        .value_kind:     hidden_block_count_z
      - .offset:         108
        .size:           2
        .value_kind:     hidden_group_size_x
      - .offset:         110
        .size:           2
        .value_kind:     hidden_group_size_y
      - .offset:         112
        .size:           2
        .value_kind:     hidden_group_size_z
      - .offset:         114
        .size:           2
        .value_kind:     hidden_remainder_x
      - .offset:         116
        .size:           2
        .value_kind:     hidden_remainder_y
      - .offset:         118
        .size:           2
        .value_kind:     hidden_remainder_z
      - .offset:         136
        .size:           8
        .value_kind:     hidden_global_offset_x
      - .offset:         144
        .size:           8
        .value_kind:     hidden_global_offset_y
      - .offset:         152
        .size:           8
        .value_kind:     hidden_global_offset_z
      - .offset:         160
        .size:           2
        .value_kind:     hidden_grid_dims
      - .offset:         176
        .size:           8
        .value_kind:     hidden_hostcall_buffer
    .group_segment_fixed_size: 0
    .kernarg_segment_align: 8
    .kernarg_segment_size: 352
    .language:       OpenCL C
    .language_version:
      - 2
      - 0
    .max_flat_workgroup_size: 256
    .name:           _ZL9mul_mat_fIfLi64ELi3ELi4ELb1EEvPKT_PKfPKiPfiiiiiiiiiiiiiiii
    .private_segment_fixed_size: 16
    .sgpr_count:     38
    .sgpr_spill_count: 0
    .symbol:         _ZL9mul_mat_fIfLi64ELi3ELi4ELb1EEvPKT_PKfPKiPfiiiiiiiiiiiiiiii.kd
    .uniform_work_group_size: 1
    .uses_dynamic_stack: false
    .vgpr_count:     38
    .vgpr_spill_count: 0
    .wavefront_size: 64
  - .args:
      - .actual_access:  read_only
        .address_space:  global
        .offset:         0
        .size:           8
        .value_kind:     global_buffer
      - .actual_access:  read_only
        .address_space:  global
        .offset:         8
        .size:           8
        .value_kind:     global_buffer
      - .actual_access:  read_only
        .address_space:  global
        .offset:         16
        .size:           8
        .value_kind:     global_buffer
      - .actual_access:  read_only
        .address_space:  global
        .offset:         24
        .size:           8
        .value_kind:     global_buffer
      - .offset:         32
        .size:           4
        .value_kind:     by_value
      - .offset:         36
        .size:           4
        .value_kind:     by_value
      - .offset:         40
        .size:           4
        .value_kind:     by_value
      - .offset:         44
        .size:           4
        .value_kind:     by_value
      - .offset:         48
        .size:           4
        .value_kind:     by_value
      - .offset:         52
        .size:           4
        .value_kind:     by_value
      - .offset:         56
        .size:           4
        .value_kind:     by_value
      - .offset:         60
        .size:           4
        .value_kind:     by_value
      - .offset:         64
        .size:           4
        .value_kind:     by_value
      - .offset:         68
        .size:           4
        .value_kind:     by_value
      - .offset:         72
        .size:           4
        .value_kind:     by_value
      - .offset:         76
        .size:           4
        .value_kind:     by_value
      - .offset:         80
        .size:           4
        .value_kind:     by_value
      - .offset:         84
        .size:           4
        .value_kind:     by_value
      - .offset:         88
        .size:           4
        .value_kind:     by_value
      - .offset:         92
        .size:           4
        .value_kind:     by_value
      - .offset:         96
        .size:           4
        .value_kind:     hidden_block_count_x
      - .offset:         100
        .size:           4
        .value_kind:     hidden_block_count_y
      - .offset:         104
        .size:           4
        .value_kind:     hidden_block_count_z
      - .offset:         108
        .size:           2
        .value_kind:     hidden_group_size_x
      - .offset:         110
        .size:           2
        .value_kind:     hidden_group_size_y
      - .offset:         112
        .size:           2
        .value_kind:     hidden_group_size_z
      - .offset:         114
        .size:           2
        .value_kind:     hidden_remainder_x
      - .offset:         116
        .size:           2
        .value_kind:     hidden_remainder_y
      - .offset:         118
        .size:           2
        .value_kind:     hidden_remainder_z
      - .offset:         136
        .size:           8
        .value_kind:     hidden_global_offset_x
      - .offset:         144
        .size:           8
        .value_kind:     hidden_global_offset_y
      - .offset:         152
        .size:           8
        .value_kind:     hidden_global_offset_z
      - .offset:         160
        .size:           2
        .value_kind:     hidden_grid_dims
      - .offset:         176
        .size:           8
        .value_kind:     hidden_hostcall_buffer
    .group_segment_fixed_size: 0
    .kernarg_segment_align: 8
    .kernarg_segment_size: 352
    .language:       OpenCL C
    .language_version:
      - 2
      - 0
    .max_flat_workgroup_size: 256
    .name:           _ZL9mul_mat_fIfLi64ELi3ELi4ELb0EEvPKT_PKfPKiPfiiiiiiiiiiiiiiii
    .private_segment_fixed_size: 16
    .sgpr_count:     38
    .sgpr_spill_count: 0
    .symbol:         _ZL9mul_mat_fIfLi64ELi3ELi4ELb0EEvPKT_PKfPKiPfiiiiiiiiiiiiiiii.kd
    .uniform_work_group_size: 1
    .uses_dynamic_stack: false
    .vgpr_count:     38
    .vgpr_spill_count: 0
    .wavefront_size: 64
  - .args:
      - .actual_access:  read_only
        .address_space:  global
        .offset:         0
        .size:           8
        .value_kind:     global_buffer
      - .actual_access:  read_only
        .address_space:  global
        .offset:         8
        .size:           8
        .value_kind:     global_buffer
      - .actual_access:  read_only
        .address_space:  global
        .offset:         16
        .size:           8
        .value_kind:     global_buffer
      - .actual_access:  read_only
        .address_space:  global
        .offset:         24
        .size:           8
        .value_kind:     global_buffer
      - .actual_access:  read_only
        .address_space:  global
        .offset:         32
        .size:           8
        .value_kind:     global_buffer
      - .actual_access:  read_only
        .address_space:  global
        .offset:         40
        .size:           8
        .value_kind:     global_buffer
      - .offset:         48
        .size:           4
        .value_kind:     by_value
      - .offset:         52
        .size:           4
        .value_kind:     by_value
      - .offset:         56
        .size:           4
        .value_kind:     by_value
      - .offset:         60
        .size:           4
        .value_kind:     by_value
      - .offset:         64
        .size:           4
        .value_kind:     by_value
      - .offset:         68
        .size:           4
        .value_kind:     by_value
      - .offset:         72
        .size:           4
        .value_kind:     by_value
      - .offset:         76
        .size:           4
        .value_kind:     by_value
      - .offset:         80
        .size:           4
        .value_kind:     by_value
      - .offset:         84
        .size:           4
        .value_kind:     by_value
      - .offset:         88
        .size:           4
        .value_kind:     by_value
      - .offset:         92
        .size:           4
        .value_kind:     by_value
      - .offset:         96
        .size:           4
        .value_kind:     by_value
      - .offset:         100
        .size:           4
        .value_kind:     by_value
      - .offset:         104
        .size:           12
        .value_kind:     by_value
      - .offset:         116
        .size:           12
        .value_kind:     by_value
      - .offset:         128
        .size:           4
        .value_kind:     hidden_block_count_x
      - .offset:         132
        .size:           4
        .value_kind:     hidden_block_count_y
      - .offset:         136
        .size:           4
        .value_kind:     hidden_block_count_z
      - .offset:         140
        .size:           2
        .value_kind:     hidden_group_size_x
      - .offset:         142
        .size:           2
        .value_kind:     hidden_group_size_y
      - .offset:         144
        .size:           2
        .value_kind:     hidden_group_size_z
      - .offset:         146
        .size:           2
        .value_kind:     hidden_remainder_x
      - .offset:         148
        .size:           2
        .value_kind:     hidden_remainder_y
      - .offset:         150
        .size:           2
        .value_kind:     hidden_remainder_z
      - .offset:         168
        .size:           8
        .value_kind:     hidden_global_offset_x
      - .offset:         176
        .size:           8
        .value_kind:     hidden_global_offset_y
      - .offset:         184
        .size:           8
        .value_kind:     hidden_global_offset_z
      - .offset:         192
        .size:           2
        .value_kind:     hidden_grid_dims
      - .offset:         208
        .size:           8
        .value_kind:     hidden_hostcall_buffer
    .group_segment_fixed_size: 0
    .kernarg_segment_align: 8
    .kernarg_segment_size: 384
    .language:       OpenCL C
    .language_version:
      - 2
      - 0
    .max_flat_workgroup_size: 320
    .name:           _ZL13mul_mat_f_idsIfLi64ELi3ELi5EEvPKT_PKfPKiS6_S6_Pfiiiiiiiiiiiiii15HIP_vector_typeIjLj3EES9_
    .private_segment_fixed_size: 16
    .sgpr_count:     38
    .sgpr_spill_count: 0
    .symbol:         _ZL13mul_mat_f_idsIfLi64ELi3ELi5EEvPKT_PKfPKiS6_S6_Pfiiiiiiiiiiiiii15HIP_vector_typeIjLj3EES9_.kd
    .uniform_work_group_size: 1
    .uses_dynamic_stack: false
    .vgpr_count:     38
    .vgpr_spill_count: 0
    .wavefront_size: 64
  - .args:
      - .actual_access:  read_only
        .address_space:  global
        .offset:         0
        .size:           8
        .value_kind:     global_buffer
      - .actual_access:  read_only
        .address_space:  global
        .offset:         8
        .size:           8
        .value_kind:     global_buffer
      - .actual_access:  read_only
        .address_space:  global
        .offset:         16
        .size:           8
        .value_kind:     global_buffer
      - .actual_access:  read_only
        .address_space:  global
        .offset:         24
        .size:           8
        .value_kind:     global_buffer
      - .offset:         32
        .size:           4
        .value_kind:     by_value
      - .offset:         36
        .size:           4
        .value_kind:     by_value
      - .offset:         40
        .size:           4
        .value_kind:     by_value
      - .offset:         44
        .size:           4
        .value_kind:     by_value
      - .offset:         48
        .size:           4
        .value_kind:     by_value
      - .offset:         52
        .size:           4
        .value_kind:     by_value
      - .offset:         56
        .size:           4
        .value_kind:     by_value
      - .offset:         60
        .size:           4
        .value_kind:     by_value
      - .offset:         64
        .size:           4
        .value_kind:     by_value
      - .offset:         68
        .size:           4
        .value_kind:     by_value
      - .offset:         72
        .size:           4
        .value_kind:     by_value
      - .offset:         76
        .size:           4
        .value_kind:     by_value
      - .offset:         80
        .size:           4
        .value_kind:     by_value
      - .offset:         84
        .size:           4
        .value_kind:     by_value
      - .offset:         88
        .size:           4
        .value_kind:     by_value
      - .offset:         92
        .size:           4
        .value_kind:     by_value
      - .offset:         96
        .size:           4
        .value_kind:     hidden_block_count_x
      - .offset:         100
        .size:           4
        .value_kind:     hidden_block_count_y
      - .offset:         104
        .size:           4
        .value_kind:     hidden_block_count_z
      - .offset:         108
        .size:           2
        .value_kind:     hidden_group_size_x
      - .offset:         110
        .size:           2
        .value_kind:     hidden_group_size_y
      - .offset:         112
        .size:           2
        .value_kind:     hidden_group_size_z
      - .offset:         114
        .size:           2
        .value_kind:     hidden_remainder_x
      - .offset:         116
        .size:           2
        .value_kind:     hidden_remainder_y
      - .offset:         118
        .size:           2
        .value_kind:     hidden_remainder_z
      - .offset:         136
        .size:           8
        .value_kind:     hidden_global_offset_x
      - .offset:         144
        .size:           8
        .value_kind:     hidden_global_offset_y
      - .offset:         152
        .size:           8
        .value_kind:     hidden_global_offset_z
      - .offset:         160
        .size:           2
        .value_kind:     hidden_grid_dims
      - .offset:         176
        .size:           8
        .value_kind:     hidden_hostcall_buffer
    .group_segment_fixed_size: 0
    .kernarg_segment_align: 8
    .kernarg_segment_size: 352
    .language:       OpenCL C
    .language_version:
      - 2
      - 0
    .max_flat_workgroup_size: 320
    .name:           _ZL9mul_mat_fIfLi64ELi3ELi5ELb1EEvPKT_PKfPKiPfiiiiiiiiiiiiiiii
    .private_segment_fixed_size: 16
    .sgpr_count:     38
    .sgpr_spill_count: 0
    .symbol:         _ZL9mul_mat_fIfLi64ELi3ELi5ELb1EEvPKT_PKfPKiPfiiiiiiiiiiiiiiii.kd
    .uniform_work_group_size: 1
    .uses_dynamic_stack: false
    .vgpr_count:     38
    .vgpr_spill_count: 0
    .wavefront_size: 64
  - .args:
      - .actual_access:  read_only
        .address_space:  global
        .offset:         0
        .size:           8
        .value_kind:     global_buffer
      - .actual_access:  read_only
        .address_space:  global
        .offset:         8
        .size:           8
        .value_kind:     global_buffer
      - .actual_access:  read_only
        .address_space:  global
        .offset:         16
        .size:           8
        .value_kind:     global_buffer
      - .actual_access:  read_only
        .address_space:  global
        .offset:         24
        .size:           8
        .value_kind:     global_buffer
      - .offset:         32
        .size:           4
        .value_kind:     by_value
      - .offset:         36
        .size:           4
        .value_kind:     by_value
      - .offset:         40
        .size:           4
        .value_kind:     by_value
      - .offset:         44
        .size:           4
        .value_kind:     by_value
      - .offset:         48
        .size:           4
        .value_kind:     by_value
      - .offset:         52
        .size:           4
        .value_kind:     by_value
      - .offset:         56
        .size:           4
        .value_kind:     by_value
      - .offset:         60
        .size:           4
        .value_kind:     by_value
      - .offset:         64
        .size:           4
        .value_kind:     by_value
      - .offset:         68
        .size:           4
        .value_kind:     by_value
      - .offset:         72
        .size:           4
        .value_kind:     by_value
      - .offset:         76
        .size:           4
        .value_kind:     by_value
      - .offset:         80
        .size:           4
        .value_kind:     by_value
      - .offset:         84
        .size:           4
        .value_kind:     by_value
      - .offset:         88
        .size:           4
        .value_kind:     by_value
      - .offset:         92
        .size:           4
        .value_kind:     by_value
      - .offset:         96
        .size:           4
        .value_kind:     hidden_block_count_x
      - .offset:         100
        .size:           4
        .value_kind:     hidden_block_count_y
      - .offset:         104
        .size:           4
        .value_kind:     hidden_block_count_z
      - .offset:         108
        .size:           2
        .value_kind:     hidden_group_size_x
      - .offset:         110
        .size:           2
        .value_kind:     hidden_group_size_y
      - .offset:         112
        .size:           2
        .value_kind:     hidden_group_size_z
      - .offset:         114
        .size:           2
        .value_kind:     hidden_remainder_x
      - .offset:         116
        .size:           2
        .value_kind:     hidden_remainder_y
      - .offset:         118
        .size:           2
        .value_kind:     hidden_remainder_z
      - .offset:         136
        .size:           8
        .value_kind:     hidden_global_offset_x
      - .offset:         144
        .size:           8
        .value_kind:     hidden_global_offset_y
      - .offset:         152
        .size:           8
        .value_kind:     hidden_global_offset_z
      - .offset:         160
        .size:           2
        .value_kind:     hidden_grid_dims
      - .offset:         176
        .size:           8
        .value_kind:     hidden_hostcall_buffer
    .group_segment_fixed_size: 0
    .kernarg_segment_align: 8
    .kernarg_segment_size: 352
    .language:       OpenCL C
    .language_version:
      - 2
      - 0
    .max_flat_workgroup_size: 320
    .name:           _ZL9mul_mat_fIfLi64ELi3ELi5ELb0EEvPKT_PKfPKiPfiiiiiiiiiiiiiiii
    .private_segment_fixed_size: 16
    .sgpr_count:     38
    .sgpr_spill_count: 0
    .symbol:         _ZL9mul_mat_fIfLi64ELi3ELi5ELb0EEvPKT_PKfPKiPfiiiiiiiiiiiiiiii.kd
    .uniform_work_group_size: 1
    .uses_dynamic_stack: false
    .vgpr_count:     38
    .vgpr_spill_count: 0
    .wavefront_size: 64
  - .args:
      - .actual_access:  read_only
        .address_space:  global
        .offset:         0
        .size:           8
        .value_kind:     global_buffer
      - .actual_access:  read_only
        .address_space:  global
        .offset:         8
        .size:           8
        .value_kind:     global_buffer
      - .actual_access:  read_only
        .address_space:  global
        .offset:         16
        .size:           8
        .value_kind:     global_buffer
      - .actual_access:  read_only
        .address_space:  global
        .offset:         24
        .size:           8
        .value_kind:     global_buffer
      - .actual_access:  read_only
        .address_space:  global
        .offset:         32
        .size:           8
        .value_kind:     global_buffer
      - .actual_access:  read_only
        .address_space:  global
        .offset:         40
        .size:           8
        .value_kind:     global_buffer
      - .offset:         48
        .size:           4
        .value_kind:     by_value
      - .offset:         52
        .size:           4
        .value_kind:     by_value
      - .offset:         56
        .size:           4
        .value_kind:     by_value
      - .offset:         60
        .size:           4
        .value_kind:     by_value
      - .offset:         64
        .size:           4
        .value_kind:     by_value
      - .offset:         68
        .size:           4
        .value_kind:     by_value
      - .offset:         72
        .size:           4
        .value_kind:     by_value
      - .offset:         76
        .size:           4
        .value_kind:     by_value
      - .offset:         80
        .size:           4
        .value_kind:     by_value
      - .offset:         84
        .size:           4
        .value_kind:     by_value
      - .offset:         88
        .size:           4
        .value_kind:     by_value
      - .offset:         92
        .size:           4
        .value_kind:     by_value
      - .offset:         96
        .size:           4
        .value_kind:     by_value
      - .offset:         100
        .size:           4
        .value_kind:     by_value
      - .offset:         104
        .size:           12
        .value_kind:     by_value
      - .offset:         116
        .size:           12
        .value_kind:     by_value
      - .offset:         128
        .size:           4
        .value_kind:     hidden_block_count_x
      - .offset:         132
        .size:           4
        .value_kind:     hidden_block_count_y
      - .offset:         136
        .size:           4
        .value_kind:     hidden_block_count_z
      - .offset:         140
        .size:           2
        .value_kind:     hidden_group_size_x
      - .offset:         142
        .size:           2
        .value_kind:     hidden_group_size_y
      - .offset:         144
        .size:           2
        .value_kind:     hidden_group_size_z
      - .offset:         146
        .size:           2
        .value_kind:     hidden_remainder_x
      - .offset:         148
        .size:           2
        .value_kind:     hidden_remainder_y
      - .offset:         150
        .size:           2
        .value_kind:     hidden_remainder_z
      - .offset:         168
        .size:           8
        .value_kind:     hidden_global_offset_x
      - .offset:         176
        .size:           8
        .value_kind:     hidden_global_offset_y
      - .offset:         184
        .size:           8
        .value_kind:     hidden_global_offset_z
      - .offset:         192
        .size:           2
        .value_kind:     hidden_grid_dims
      - .offset:         208
        .size:           8
        .value_kind:     hidden_hostcall_buffer
    .group_segment_fixed_size: 0
    .kernarg_segment_align: 8
    .kernarg_segment_size: 384
    .language:       OpenCL C
    .language_version:
      - 2
      - 0
    .max_flat_workgroup_size: 384
    .name:           _ZL13mul_mat_f_idsIfLi64ELi3ELi6EEvPKT_PKfPKiS6_S6_Pfiiiiiiiiiiiiii15HIP_vector_typeIjLj3EES9_
    .private_segment_fixed_size: 16
    .sgpr_count:     38
    .sgpr_spill_count: 0
    .symbol:         _ZL13mul_mat_f_idsIfLi64ELi3ELi6EEvPKT_PKfPKiS6_S6_Pfiiiiiiiiiiiiii15HIP_vector_typeIjLj3EES9_.kd
    .uniform_work_group_size: 1
    .uses_dynamic_stack: false
    .vgpr_count:     38
    .vgpr_spill_count: 0
    .wavefront_size: 64
  - .args:
      - .actual_access:  read_only
        .address_space:  global
        .offset:         0
        .size:           8
        .value_kind:     global_buffer
      - .actual_access:  read_only
        .address_space:  global
        .offset:         8
        .size:           8
        .value_kind:     global_buffer
      - .actual_access:  read_only
        .address_space:  global
        .offset:         16
        .size:           8
        .value_kind:     global_buffer
      - .actual_access:  read_only
        .address_space:  global
        .offset:         24
        .size:           8
        .value_kind:     global_buffer
      - .offset:         32
        .size:           4
        .value_kind:     by_value
      - .offset:         36
        .size:           4
        .value_kind:     by_value
      - .offset:         40
        .size:           4
        .value_kind:     by_value
      - .offset:         44
        .size:           4
        .value_kind:     by_value
      - .offset:         48
        .size:           4
        .value_kind:     by_value
      - .offset:         52
        .size:           4
        .value_kind:     by_value
      - .offset:         56
        .size:           4
        .value_kind:     by_value
      - .offset:         60
        .size:           4
        .value_kind:     by_value
      - .offset:         64
        .size:           4
        .value_kind:     by_value
      - .offset:         68
        .size:           4
        .value_kind:     by_value
      - .offset:         72
        .size:           4
        .value_kind:     by_value
      - .offset:         76
        .size:           4
        .value_kind:     by_value
      - .offset:         80
        .size:           4
        .value_kind:     by_value
      - .offset:         84
        .size:           4
        .value_kind:     by_value
      - .offset:         88
        .size:           4
        .value_kind:     by_value
      - .offset:         92
        .size:           4
        .value_kind:     by_value
      - .offset:         96
        .size:           4
        .value_kind:     hidden_block_count_x
      - .offset:         100
        .size:           4
        .value_kind:     hidden_block_count_y
      - .offset:         104
        .size:           4
        .value_kind:     hidden_block_count_z
      - .offset:         108
        .size:           2
        .value_kind:     hidden_group_size_x
      - .offset:         110
        .size:           2
        .value_kind:     hidden_group_size_y
      - .offset:         112
        .size:           2
        .value_kind:     hidden_group_size_z
      - .offset:         114
        .size:           2
        .value_kind:     hidden_remainder_x
      - .offset:         116
        .size:           2
        .value_kind:     hidden_remainder_y
      - .offset:         118
        .size:           2
        .value_kind:     hidden_remainder_z
      - .offset:         136
        .size:           8
        .value_kind:     hidden_global_offset_x
      - .offset:         144
        .size:           8
        .value_kind:     hidden_global_offset_y
      - .offset:         152
        .size:           8
        .value_kind:     hidden_global_offset_z
      - .offset:         160
        .size:           2
        .value_kind:     hidden_grid_dims
      - .offset:         176
        .size:           8
        .value_kind:     hidden_hostcall_buffer
    .group_segment_fixed_size: 0
    .kernarg_segment_align: 8
    .kernarg_segment_size: 352
    .language:       OpenCL C
    .language_version:
      - 2
      - 0
    .max_flat_workgroup_size: 384
    .name:           _ZL9mul_mat_fIfLi64ELi3ELi6ELb1EEvPKT_PKfPKiPfiiiiiiiiiiiiiiii
    .private_segment_fixed_size: 16
    .sgpr_count:     38
    .sgpr_spill_count: 0
    .symbol:         _ZL9mul_mat_fIfLi64ELi3ELi6ELb1EEvPKT_PKfPKiPfiiiiiiiiiiiiiiii.kd
    .uniform_work_group_size: 1
    .uses_dynamic_stack: false
    .vgpr_count:     38
    .vgpr_spill_count: 0
    .wavefront_size: 64
  - .args:
      - .actual_access:  read_only
        .address_space:  global
        .offset:         0
        .size:           8
        .value_kind:     global_buffer
      - .actual_access:  read_only
        .address_space:  global
        .offset:         8
        .size:           8
        .value_kind:     global_buffer
      - .actual_access:  read_only
        .address_space:  global
        .offset:         16
        .size:           8
        .value_kind:     global_buffer
      - .actual_access:  read_only
        .address_space:  global
        .offset:         24
        .size:           8
        .value_kind:     global_buffer
      - .offset:         32
        .size:           4
        .value_kind:     by_value
      - .offset:         36
        .size:           4
        .value_kind:     by_value
      - .offset:         40
        .size:           4
        .value_kind:     by_value
      - .offset:         44
        .size:           4
        .value_kind:     by_value
      - .offset:         48
        .size:           4
        .value_kind:     by_value
      - .offset:         52
        .size:           4
        .value_kind:     by_value
      - .offset:         56
        .size:           4
        .value_kind:     by_value
      - .offset:         60
        .size:           4
        .value_kind:     by_value
      - .offset:         64
        .size:           4
        .value_kind:     by_value
      - .offset:         68
        .size:           4
        .value_kind:     by_value
      - .offset:         72
        .size:           4
        .value_kind:     by_value
      - .offset:         76
        .size:           4
        .value_kind:     by_value
      - .offset:         80
        .size:           4
        .value_kind:     by_value
      - .offset:         84
        .size:           4
        .value_kind:     by_value
      - .offset:         88
        .size:           4
        .value_kind:     by_value
      - .offset:         92
        .size:           4
        .value_kind:     by_value
      - .offset:         96
        .size:           4
        .value_kind:     hidden_block_count_x
      - .offset:         100
        .size:           4
        .value_kind:     hidden_block_count_y
      - .offset:         104
        .size:           4
        .value_kind:     hidden_block_count_z
      - .offset:         108
        .size:           2
        .value_kind:     hidden_group_size_x
      - .offset:         110
        .size:           2
        .value_kind:     hidden_group_size_y
      - .offset:         112
        .size:           2
        .value_kind:     hidden_group_size_z
      - .offset:         114
        .size:           2
        .value_kind:     hidden_remainder_x
      - .offset:         116
        .size:           2
        .value_kind:     hidden_remainder_y
      - .offset:         118
        .size:           2
        .value_kind:     hidden_remainder_z
      - .offset:         136
        .size:           8
        .value_kind:     hidden_global_offset_x
      - .offset:         144
        .size:           8
        .value_kind:     hidden_global_offset_y
      - .offset:         152
        .size:           8
        .value_kind:     hidden_global_offset_z
      - .offset:         160
        .size:           2
        .value_kind:     hidden_grid_dims
      - .offset:         176
        .size:           8
        .value_kind:     hidden_hostcall_buffer
    .group_segment_fixed_size: 0
    .kernarg_segment_align: 8
    .kernarg_segment_size: 352
    .language:       OpenCL C
    .language_version:
      - 2
      - 0
    .max_flat_workgroup_size: 384
    .name:           _ZL9mul_mat_fIfLi64ELi3ELi6ELb0EEvPKT_PKfPKiPfiiiiiiiiiiiiiiii
    .private_segment_fixed_size: 16
    .sgpr_count:     38
    .sgpr_spill_count: 0
    .symbol:         _ZL9mul_mat_fIfLi64ELi3ELi6ELb0EEvPKT_PKfPKiPfiiiiiiiiiiiiiiii.kd
    .uniform_work_group_size: 1
    .uses_dynamic_stack: false
    .vgpr_count:     38
    .vgpr_spill_count: 0
    .wavefront_size: 64
  - .args:
      - .actual_access:  read_only
        .address_space:  global
        .offset:         0
        .size:           8
        .value_kind:     global_buffer
      - .actual_access:  read_only
        .address_space:  global
        .offset:         8
        .size:           8
        .value_kind:     global_buffer
      - .actual_access:  read_only
        .address_space:  global
        .offset:         16
        .size:           8
        .value_kind:     global_buffer
      - .actual_access:  read_only
        .address_space:  global
        .offset:         24
        .size:           8
        .value_kind:     global_buffer
      - .actual_access:  read_only
        .address_space:  global
        .offset:         32
        .size:           8
        .value_kind:     global_buffer
      - .actual_access:  read_only
        .address_space:  global
        .offset:         40
        .size:           8
        .value_kind:     global_buffer
      - .offset:         48
        .size:           4
        .value_kind:     by_value
      - .offset:         52
        .size:           4
        .value_kind:     by_value
      - .offset:         56
        .size:           4
        .value_kind:     by_value
      - .offset:         60
        .size:           4
        .value_kind:     by_value
      - .offset:         64
        .size:           4
        .value_kind:     by_value
      - .offset:         68
        .size:           4
        .value_kind:     by_value
      - .offset:         72
        .size:           4
        .value_kind:     by_value
      - .offset:         76
        .size:           4
        .value_kind:     by_value
      - .offset:         80
        .size:           4
        .value_kind:     by_value
      - .offset:         84
        .size:           4
        .value_kind:     by_value
      - .offset:         88
        .size:           4
        .value_kind:     by_value
      - .offset:         92
        .size:           4
        .value_kind:     by_value
      - .offset:         96
        .size:           4
        .value_kind:     by_value
      - .offset:         100
        .size:           4
        .value_kind:     by_value
      - .offset:         104
        .size:           12
        .value_kind:     by_value
      - .offset:         116
        .size:           12
        .value_kind:     by_value
      - .offset:         128
        .size:           4
        .value_kind:     hidden_block_count_x
      - .offset:         132
        .size:           4
        .value_kind:     hidden_block_count_y
      - .offset:         136
        .size:           4
        .value_kind:     hidden_block_count_z
      - .offset:         140
        .size:           2
        .value_kind:     hidden_group_size_x
      - .offset:         142
        .size:           2
        .value_kind:     hidden_group_size_y
      - .offset:         144
        .size:           2
        .value_kind:     hidden_group_size_z
      - .offset:         146
        .size:           2
        .value_kind:     hidden_remainder_x
      - .offset:         148
        .size:           2
        .value_kind:     hidden_remainder_y
      - .offset:         150
        .size:           2
        .value_kind:     hidden_remainder_z
      - .offset:         168
        .size:           8
        .value_kind:     hidden_global_offset_x
      - .offset:         176
        .size:           8
        .value_kind:     hidden_global_offset_y
      - .offset:         184
        .size:           8
        .value_kind:     hidden_global_offset_z
      - .offset:         192
        .size:           2
        .value_kind:     hidden_grid_dims
      - .offset:         208
        .size:           8
        .value_kind:     hidden_hostcall_buffer
    .group_segment_fixed_size: 0
    .kernarg_segment_align: 8
    .kernarg_segment_size: 384
    .language:       OpenCL C
    .language_version:
      - 2
      - 0
    .max_flat_workgroup_size: 448
    .name:           _ZL13mul_mat_f_idsIfLi64ELi3ELi7EEvPKT_PKfPKiS6_S6_Pfiiiiiiiiiiiiii15HIP_vector_typeIjLj3EES9_
    .private_segment_fixed_size: 16
    .sgpr_count:     38
    .sgpr_spill_count: 0
    .symbol:         _ZL13mul_mat_f_idsIfLi64ELi3ELi7EEvPKT_PKfPKiS6_S6_Pfiiiiiiiiiiiiii15HIP_vector_typeIjLj3EES9_.kd
    .uniform_work_group_size: 1
    .uses_dynamic_stack: false
    .vgpr_count:     38
    .vgpr_spill_count: 0
    .wavefront_size: 64
  - .args:
      - .actual_access:  read_only
        .address_space:  global
        .offset:         0
        .size:           8
        .value_kind:     global_buffer
      - .actual_access:  read_only
        .address_space:  global
        .offset:         8
        .size:           8
        .value_kind:     global_buffer
      - .actual_access:  read_only
        .address_space:  global
        .offset:         16
        .size:           8
        .value_kind:     global_buffer
      - .actual_access:  read_only
        .address_space:  global
        .offset:         24
        .size:           8
        .value_kind:     global_buffer
      - .offset:         32
        .size:           4
        .value_kind:     by_value
      - .offset:         36
        .size:           4
        .value_kind:     by_value
      - .offset:         40
        .size:           4
        .value_kind:     by_value
      - .offset:         44
        .size:           4
        .value_kind:     by_value
      - .offset:         48
        .size:           4
        .value_kind:     by_value
      - .offset:         52
        .size:           4
        .value_kind:     by_value
      - .offset:         56
        .size:           4
        .value_kind:     by_value
      - .offset:         60
        .size:           4
        .value_kind:     by_value
      - .offset:         64
        .size:           4
        .value_kind:     by_value
      - .offset:         68
        .size:           4
        .value_kind:     by_value
      - .offset:         72
        .size:           4
        .value_kind:     by_value
      - .offset:         76
        .size:           4
        .value_kind:     by_value
      - .offset:         80
        .size:           4
        .value_kind:     by_value
      - .offset:         84
        .size:           4
        .value_kind:     by_value
      - .offset:         88
        .size:           4
        .value_kind:     by_value
      - .offset:         92
        .size:           4
        .value_kind:     by_value
      - .offset:         96
        .size:           4
        .value_kind:     hidden_block_count_x
      - .offset:         100
        .size:           4
        .value_kind:     hidden_block_count_y
      - .offset:         104
        .size:           4
        .value_kind:     hidden_block_count_z
      - .offset:         108
        .size:           2
        .value_kind:     hidden_group_size_x
      - .offset:         110
        .size:           2
        .value_kind:     hidden_group_size_y
      - .offset:         112
        .size:           2
        .value_kind:     hidden_group_size_z
      - .offset:         114
        .size:           2
        .value_kind:     hidden_remainder_x
      - .offset:         116
        .size:           2
        .value_kind:     hidden_remainder_y
      - .offset:         118
        .size:           2
        .value_kind:     hidden_remainder_z
      - .offset:         136
        .size:           8
        .value_kind:     hidden_global_offset_x
      - .offset:         144
        .size:           8
        .value_kind:     hidden_global_offset_y
      - .offset:         152
        .size:           8
        .value_kind:     hidden_global_offset_z
      - .offset:         160
        .size:           2
        .value_kind:     hidden_grid_dims
      - .offset:         176
        .size:           8
        .value_kind:     hidden_hostcall_buffer
    .group_segment_fixed_size: 0
    .kernarg_segment_align: 8
    .kernarg_segment_size: 352
    .language:       OpenCL C
    .language_version:
      - 2
      - 0
    .max_flat_workgroup_size: 448
    .name:           _ZL9mul_mat_fIfLi64ELi3ELi7ELb1EEvPKT_PKfPKiPfiiiiiiiiiiiiiiii
    .private_segment_fixed_size: 16
    .sgpr_count:     38
    .sgpr_spill_count: 0
    .symbol:         _ZL9mul_mat_fIfLi64ELi3ELi7ELb1EEvPKT_PKfPKiPfiiiiiiiiiiiiiiii.kd
    .uniform_work_group_size: 1
    .uses_dynamic_stack: false
    .vgpr_count:     38
    .vgpr_spill_count: 0
    .wavefront_size: 64
  - .args:
      - .actual_access:  read_only
        .address_space:  global
        .offset:         0
        .size:           8
        .value_kind:     global_buffer
      - .actual_access:  read_only
        .address_space:  global
        .offset:         8
        .size:           8
        .value_kind:     global_buffer
      - .actual_access:  read_only
        .address_space:  global
        .offset:         16
        .size:           8
        .value_kind:     global_buffer
      - .actual_access:  read_only
        .address_space:  global
        .offset:         24
        .size:           8
        .value_kind:     global_buffer
      - .offset:         32
        .size:           4
        .value_kind:     by_value
      - .offset:         36
        .size:           4
        .value_kind:     by_value
      - .offset:         40
        .size:           4
        .value_kind:     by_value
      - .offset:         44
        .size:           4
        .value_kind:     by_value
      - .offset:         48
        .size:           4
        .value_kind:     by_value
      - .offset:         52
        .size:           4
        .value_kind:     by_value
      - .offset:         56
        .size:           4
        .value_kind:     by_value
      - .offset:         60
        .size:           4
        .value_kind:     by_value
      - .offset:         64
        .size:           4
        .value_kind:     by_value
      - .offset:         68
        .size:           4
        .value_kind:     by_value
      - .offset:         72
        .size:           4
        .value_kind:     by_value
      - .offset:         76
        .size:           4
        .value_kind:     by_value
      - .offset:         80
        .size:           4
        .value_kind:     by_value
      - .offset:         84
        .size:           4
        .value_kind:     by_value
      - .offset:         88
        .size:           4
        .value_kind:     by_value
      - .offset:         92
        .size:           4
        .value_kind:     by_value
      - .offset:         96
        .size:           4
        .value_kind:     hidden_block_count_x
      - .offset:         100
        .size:           4
        .value_kind:     hidden_block_count_y
      - .offset:         104
        .size:           4
        .value_kind:     hidden_block_count_z
      - .offset:         108
        .size:           2
        .value_kind:     hidden_group_size_x
      - .offset:         110
        .size:           2
        .value_kind:     hidden_group_size_y
      - .offset:         112
        .size:           2
        .value_kind:     hidden_group_size_z
      - .offset:         114
        .size:           2
        .value_kind:     hidden_remainder_x
      - .offset:         116
        .size:           2
        .value_kind:     hidden_remainder_y
      - .offset:         118
        .size:           2
        .value_kind:     hidden_remainder_z
      - .offset:         136
        .size:           8
        .value_kind:     hidden_global_offset_x
      - .offset:         144
        .size:           8
        .value_kind:     hidden_global_offset_y
      - .offset:         152
        .size:           8
        .value_kind:     hidden_global_offset_z
      - .offset:         160
        .size:           2
        .value_kind:     hidden_grid_dims
      - .offset:         176
        .size:           8
        .value_kind:     hidden_hostcall_buffer
    .group_segment_fixed_size: 0
    .kernarg_segment_align: 8
    .kernarg_segment_size: 352
    .language:       OpenCL C
    .language_version:
      - 2
      - 0
    .max_flat_workgroup_size: 448
    .name:           _ZL9mul_mat_fIfLi64ELi3ELi7ELb0EEvPKT_PKfPKiPfiiiiiiiiiiiiiiii
    .private_segment_fixed_size: 16
    .sgpr_count:     38
    .sgpr_spill_count: 0
    .symbol:         _ZL9mul_mat_fIfLi64ELi3ELi7ELb0EEvPKT_PKfPKiPfiiiiiiiiiiiiiiii.kd
    .uniform_work_group_size: 1
    .uses_dynamic_stack: false
    .vgpr_count:     38
    .vgpr_spill_count: 0
    .wavefront_size: 64
  - .args:
      - .actual_access:  read_only
        .address_space:  global
        .offset:         0
        .size:           8
        .value_kind:     global_buffer
      - .actual_access:  read_only
        .address_space:  global
        .offset:         8
        .size:           8
        .value_kind:     global_buffer
      - .actual_access:  read_only
        .address_space:  global
        .offset:         16
        .size:           8
        .value_kind:     global_buffer
      - .actual_access:  read_only
        .address_space:  global
        .offset:         24
        .size:           8
        .value_kind:     global_buffer
      - .actual_access:  read_only
        .address_space:  global
        .offset:         32
        .size:           8
        .value_kind:     global_buffer
      - .actual_access:  read_only
        .address_space:  global
        .offset:         40
        .size:           8
        .value_kind:     global_buffer
      - .offset:         48
        .size:           4
        .value_kind:     by_value
      - .offset:         52
        .size:           4
        .value_kind:     by_value
      - .offset:         56
        .size:           4
        .value_kind:     by_value
      - .offset:         60
        .size:           4
        .value_kind:     by_value
      - .offset:         64
        .size:           4
        .value_kind:     by_value
      - .offset:         68
        .size:           4
        .value_kind:     by_value
      - .offset:         72
        .size:           4
        .value_kind:     by_value
      - .offset:         76
        .size:           4
        .value_kind:     by_value
      - .offset:         80
        .size:           4
        .value_kind:     by_value
      - .offset:         84
        .size:           4
        .value_kind:     by_value
      - .offset:         88
        .size:           4
        .value_kind:     by_value
      - .offset:         92
        .size:           4
        .value_kind:     by_value
      - .offset:         96
        .size:           4
        .value_kind:     by_value
      - .offset:         100
        .size:           4
        .value_kind:     by_value
      - .offset:         104
        .size:           12
        .value_kind:     by_value
      - .offset:         116
        .size:           12
        .value_kind:     by_value
      - .offset:         128
        .size:           4
        .value_kind:     hidden_block_count_x
      - .offset:         132
        .size:           4
        .value_kind:     hidden_block_count_y
      - .offset:         136
        .size:           4
        .value_kind:     hidden_block_count_z
      - .offset:         140
        .size:           2
        .value_kind:     hidden_group_size_x
      - .offset:         142
        .size:           2
        .value_kind:     hidden_group_size_y
      - .offset:         144
        .size:           2
        .value_kind:     hidden_group_size_z
      - .offset:         146
        .size:           2
        .value_kind:     hidden_remainder_x
      - .offset:         148
        .size:           2
        .value_kind:     hidden_remainder_y
      - .offset:         150
        .size:           2
        .value_kind:     hidden_remainder_z
      - .offset:         168
        .size:           8
        .value_kind:     hidden_global_offset_x
      - .offset:         176
        .size:           8
        .value_kind:     hidden_global_offset_y
      - .offset:         184
        .size:           8
        .value_kind:     hidden_global_offset_z
      - .offset:         192
        .size:           2
        .value_kind:     hidden_grid_dims
      - .offset:         208
        .size:           8
        .value_kind:     hidden_hostcall_buffer
    .group_segment_fixed_size: 0
    .kernarg_segment_align: 8
    .kernarg_segment_size: 384
    .language:       OpenCL C
    .language_version:
      - 2
      - 0
    .max_flat_workgroup_size: 512
    .name:           _ZL13mul_mat_f_idsIfLi64ELi3ELi8EEvPKT_PKfPKiS6_S6_Pfiiiiiiiiiiiiii15HIP_vector_typeIjLj3EES9_
    .private_segment_fixed_size: 16
    .sgpr_count:     38
    .sgpr_spill_count: 0
    .symbol:         _ZL13mul_mat_f_idsIfLi64ELi3ELi8EEvPKT_PKfPKiS6_S6_Pfiiiiiiiiiiiiii15HIP_vector_typeIjLj3EES9_.kd
    .uniform_work_group_size: 1
    .uses_dynamic_stack: false
    .vgpr_count:     38
    .vgpr_spill_count: 0
    .wavefront_size: 64
  - .args:
      - .actual_access:  read_only
        .address_space:  global
        .offset:         0
        .size:           8
        .value_kind:     global_buffer
      - .actual_access:  read_only
        .address_space:  global
        .offset:         8
        .size:           8
        .value_kind:     global_buffer
      - .actual_access:  read_only
        .address_space:  global
        .offset:         16
        .size:           8
        .value_kind:     global_buffer
      - .actual_access:  read_only
        .address_space:  global
        .offset:         24
        .size:           8
        .value_kind:     global_buffer
      - .offset:         32
        .size:           4
        .value_kind:     by_value
      - .offset:         36
        .size:           4
        .value_kind:     by_value
      - .offset:         40
        .size:           4
        .value_kind:     by_value
      - .offset:         44
        .size:           4
        .value_kind:     by_value
      - .offset:         48
        .size:           4
        .value_kind:     by_value
      - .offset:         52
        .size:           4
        .value_kind:     by_value
      - .offset:         56
        .size:           4
        .value_kind:     by_value
      - .offset:         60
        .size:           4
        .value_kind:     by_value
      - .offset:         64
        .size:           4
        .value_kind:     by_value
      - .offset:         68
        .size:           4
        .value_kind:     by_value
      - .offset:         72
        .size:           4
        .value_kind:     by_value
      - .offset:         76
        .size:           4
        .value_kind:     by_value
      - .offset:         80
        .size:           4
        .value_kind:     by_value
      - .offset:         84
        .size:           4
        .value_kind:     by_value
      - .offset:         88
        .size:           4
        .value_kind:     by_value
      - .offset:         92
        .size:           4
        .value_kind:     by_value
      - .offset:         96
        .size:           4
        .value_kind:     hidden_block_count_x
      - .offset:         100
        .size:           4
        .value_kind:     hidden_block_count_y
      - .offset:         104
        .size:           4
        .value_kind:     hidden_block_count_z
      - .offset:         108
        .size:           2
        .value_kind:     hidden_group_size_x
      - .offset:         110
        .size:           2
        .value_kind:     hidden_group_size_y
      - .offset:         112
        .size:           2
        .value_kind:     hidden_group_size_z
      - .offset:         114
        .size:           2
        .value_kind:     hidden_remainder_x
      - .offset:         116
        .size:           2
        .value_kind:     hidden_remainder_y
      - .offset:         118
        .size:           2
        .value_kind:     hidden_remainder_z
      - .offset:         136
        .size:           8
        .value_kind:     hidden_global_offset_x
      - .offset:         144
        .size:           8
        .value_kind:     hidden_global_offset_y
      - .offset:         152
        .size:           8
        .value_kind:     hidden_global_offset_z
      - .offset:         160
        .size:           2
        .value_kind:     hidden_grid_dims
      - .offset:         176
        .size:           8
        .value_kind:     hidden_hostcall_buffer
    .group_segment_fixed_size: 0
    .kernarg_segment_align: 8
    .kernarg_segment_size: 352
    .language:       OpenCL C
    .language_version:
      - 2
      - 0
    .max_flat_workgroup_size: 512
    .name:           _ZL9mul_mat_fIfLi64ELi3ELi8ELb1EEvPKT_PKfPKiPfiiiiiiiiiiiiiiii
    .private_segment_fixed_size: 16
    .sgpr_count:     38
    .sgpr_spill_count: 0
    .symbol:         _ZL9mul_mat_fIfLi64ELi3ELi8ELb1EEvPKT_PKfPKiPfiiiiiiiiiiiiiiii.kd
    .uniform_work_group_size: 1
    .uses_dynamic_stack: false
    .vgpr_count:     38
    .vgpr_spill_count: 0
    .wavefront_size: 64
  - .args:
      - .actual_access:  read_only
        .address_space:  global
        .offset:         0
        .size:           8
        .value_kind:     global_buffer
      - .actual_access:  read_only
        .address_space:  global
        .offset:         8
        .size:           8
        .value_kind:     global_buffer
      - .actual_access:  read_only
        .address_space:  global
        .offset:         16
        .size:           8
        .value_kind:     global_buffer
      - .actual_access:  read_only
        .address_space:  global
        .offset:         24
        .size:           8
        .value_kind:     global_buffer
      - .offset:         32
        .size:           4
        .value_kind:     by_value
      - .offset:         36
        .size:           4
        .value_kind:     by_value
      - .offset:         40
        .size:           4
        .value_kind:     by_value
      - .offset:         44
        .size:           4
        .value_kind:     by_value
      - .offset:         48
        .size:           4
        .value_kind:     by_value
      - .offset:         52
        .size:           4
        .value_kind:     by_value
      - .offset:         56
        .size:           4
        .value_kind:     by_value
      - .offset:         60
        .size:           4
        .value_kind:     by_value
      - .offset:         64
        .size:           4
        .value_kind:     by_value
      - .offset:         68
        .size:           4
        .value_kind:     by_value
      - .offset:         72
        .size:           4
        .value_kind:     by_value
      - .offset:         76
        .size:           4
        .value_kind:     by_value
      - .offset:         80
        .size:           4
        .value_kind:     by_value
      - .offset:         84
        .size:           4
        .value_kind:     by_value
      - .offset:         88
        .size:           4
        .value_kind:     by_value
      - .offset:         92
        .size:           4
        .value_kind:     by_value
      - .offset:         96
        .size:           4
        .value_kind:     hidden_block_count_x
      - .offset:         100
        .size:           4
        .value_kind:     hidden_block_count_y
      - .offset:         104
        .size:           4
        .value_kind:     hidden_block_count_z
      - .offset:         108
        .size:           2
        .value_kind:     hidden_group_size_x
      - .offset:         110
        .size:           2
        .value_kind:     hidden_group_size_y
      - .offset:         112
        .size:           2
        .value_kind:     hidden_group_size_z
      - .offset:         114
        .size:           2
        .value_kind:     hidden_remainder_x
      - .offset:         116
        .size:           2
        .value_kind:     hidden_remainder_y
      - .offset:         118
        .size:           2
        .value_kind:     hidden_remainder_z
      - .offset:         136
        .size:           8
        .value_kind:     hidden_global_offset_x
      - .offset:         144
        .size:           8
        .value_kind:     hidden_global_offset_y
      - .offset:         152
        .size:           8
        .value_kind:     hidden_global_offset_z
      - .offset:         160
        .size:           2
        .value_kind:     hidden_grid_dims
      - .offset:         176
        .size:           8
        .value_kind:     hidden_hostcall_buffer
    .group_segment_fixed_size: 0
    .kernarg_segment_align: 8
    .kernarg_segment_size: 352
    .language:       OpenCL C
    .language_version:
      - 2
      - 0
    .max_flat_workgroup_size: 512
    .name:           _ZL9mul_mat_fIfLi64ELi3ELi8ELb0EEvPKT_PKfPKiPfiiiiiiiiiiiiiiii
    .private_segment_fixed_size: 16
    .sgpr_count:     38
    .sgpr_spill_count: 0
    .symbol:         _ZL9mul_mat_fIfLi64ELi3ELi8ELb0EEvPKT_PKfPKiPfiiiiiiiiiiiiiiii.kd
    .uniform_work_group_size: 1
    .uses_dynamic_stack: false
    .vgpr_count:     38
    .vgpr_spill_count: 0
    .wavefront_size: 64
  - .args:
      - .actual_access:  read_only
        .address_space:  global
        .offset:         0
        .size:           8
        .value_kind:     global_buffer
      - .actual_access:  read_only
        .address_space:  global
        .offset:         8
        .size:           8
        .value_kind:     global_buffer
      - .actual_access:  read_only
        .address_space:  global
        .offset:         16
        .size:           8
        .value_kind:     global_buffer
      - .actual_access:  read_only
        .address_space:  global
        .offset:         24
        .size:           8
        .value_kind:     global_buffer
      - .actual_access:  read_only
        .address_space:  global
        .offset:         32
        .size:           8
        .value_kind:     global_buffer
      - .actual_access:  read_only
        .address_space:  global
        .offset:         40
        .size:           8
        .value_kind:     global_buffer
      - .offset:         48
        .size:           4
        .value_kind:     by_value
      - .offset:         52
        .size:           4
        .value_kind:     by_value
      - .offset:         56
        .size:           4
        .value_kind:     by_value
      - .offset:         60
        .size:           4
        .value_kind:     by_value
      - .offset:         64
        .size:           4
        .value_kind:     by_value
      - .offset:         68
        .size:           4
        .value_kind:     by_value
      - .offset:         72
        .size:           4
        .value_kind:     by_value
      - .offset:         76
        .size:           4
        .value_kind:     by_value
      - .offset:         80
        .size:           4
        .value_kind:     by_value
      - .offset:         84
        .size:           4
        .value_kind:     by_value
      - .offset:         88
        .size:           4
        .value_kind:     by_value
      - .offset:         92
        .size:           4
        .value_kind:     by_value
      - .offset:         96
        .size:           4
        .value_kind:     by_value
      - .offset:         100
        .size:           4
        .value_kind:     by_value
      - .offset:         104
        .size:           12
        .value_kind:     by_value
      - .offset:         116
        .size:           12
        .value_kind:     by_value
      - .offset:         128
        .size:           4
        .value_kind:     hidden_block_count_x
      - .offset:         132
        .size:           4
        .value_kind:     hidden_block_count_y
      - .offset:         136
        .size:           4
        .value_kind:     hidden_block_count_z
      - .offset:         140
        .size:           2
        .value_kind:     hidden_group_size_x
      - .offset:         142
        .size:           2
        .value_kind:     hidden_group_size_y
      - .offset:         144
        .size:           2
        .value_kind:     hidden_group_size_z
      - .offset:         146
        .size:           2
        .value_kind:     hidden_remainder_x
      - .offset:         148
        .size:           2
        .value_kind:     hidden_remainder_y
      - .offset:         150
        .size:           2
        .value_kind:     hidden_remainder_z
      - .offset:         168
        .size:           8
        .value_kind:     hidden_global_offset_x
      - .offset:         176
        .size:           8
        .value_kind:     hidden_global_offset_y
      - .offset:         184
        .size:           8
        .value_kind:     hidden_global_offset_z
      - .offset:         192
        .size:           2
        .value_kind:     hidden_grid_dims
      - .offset:         208
        .size:           8
        .value_kind:     hidden_hostcall_buffer
    .group_segment_fixed_size: 0
    .kernarg_segment_align: 8
    .kernarg_segment_size: 384
    .language:       OpenCL C
    .language_version:
      - 2
      - 0
    .max_flat_workgroup_size: 64
    .name:           _ZL13mul_mat_f_idsI7__half2Li64ELi3ELi1EEvPKT_PKfPKiS7_S7_Pfiiiiiiiiiiiiii15HIP_vector_typeIjLj3EESA_
    .private_segment_fixed_size: 16
    .sgpr_count:     38
    .sgpr_spill_count: 0
    .symbol:         _ZL13mul_mat_f_idsI7__half2Li64ELi3ELi1EEvPKT_PKfPKiS7_S7_Pfiiiiiiiiiiiiii15HIP_vector_typeIjLj3EESA_.kd
    .uniform_work_group_size: 1
    .uses_dynamic_stack: false
    .vgpr_count:     38
    .vgpr_spill_count: 0
    .wavefront_size: 64
  - .args:
      - .actual_access:  read_only
        .address_space:  global
        .offset:         0
        .size:           8
        .value_kind:     global_buffer
      - .actual_access:  read_only
        .address_space:  global
        .offset:         8
        .size:           8
        .value_kind:     global_buffer
      - .actual_access:  read_only
        .address_space:  global
        .offset:         16
        .size:           8
        .value_kind:     global_buffer
      - .actual_access:  read_only
        .address_space:  global
        .offset:         24
        .size:           8
        .value_kind:     global_buffer
      - .offset:         32
        .size:           4
        .value_kind:     by_value
      - .offset:         36
        .size:           4
        .value_kind:     by_value
      - .offset:         40
        .size:           4
        .value_kind:     by_value
      - .offset:         44
        .size:           4
        .value_kind:     by_value
      - .offset:         48
        .size:           4
        .value_kind:     by_value
      - .offset:         52
        .size:           4
        .value_kind:     by_value
      - .offset:         56
        .size:           4
        .value_kind:     by_value
      - .offset:         60
        .size:           4
        .value_kind:     by_value
      - .offset:         64
        .size:           4
        .value_kind:     by_value
      - .offset:         68
        .size:           4
        .value_kind:     by_value
      - .offset:         72
        .size:           4
        .value_kind:     by_value
      - .offset:         76
        .size:           4
        .value_kind:     by_value
      - .offset:         80
        .size:           4
        .value_kind:     by_value
      - .offset:         84
        .size:           4
        .value_kind:     by_value
      - .offset:         88
        .size:           4
        .value_kind:     by_value
      - .offset:         92
        .size:           4
        .value_kind:     by_value
      - .offset:         96
        .size:           4
        .value_kind:     hidden_block_count_x
      - .offset:         100
        .size:           4
        .value_kind:     hidden_block_count_y
      - .offset:         104
        .size:           4
        .value_kind:     hidden_block_count_z
      - .offset:         108
        .size:           2
        .value_kind:     hidden_group_size_x
      - .offset:         110
        .size:           2
        .value_kind:     hidden_group_size_y
      - .offset:         112
        .size:           2
        .value_kind:     hidden_group_size_z
      - .offset:         114
        .size:           2
        .value_kind:     hidden_remainder_x
      - .offset:         116
        .size:           2
        .value_kind:     hidden_remainder_y
      - .offset:         118
        .size:           2
        .value_kind:     hidden_remainder_z
      - .offset:         136
        .size:           8
        .value_kind:     hidden_global_offset_x
      - .offset:         144
        .size:           8
        .value_kind:     hidden_global_offset_y
      - .offset:         152
        .size:           8
        .value_kind:     hidden_global_offset_z
      - .offset:         160
        .size:           2
        .value_kind:     hidden_grid_dims
      - .offset:         176
        .size:           8
        .value_kind:     hidden_hostcall_buffer
    .group_segment_fixed_size: 0
    .kernarg_segment_align: 8
    .kernarg_segment_size: 352
    .language:       OpenCL C
    .language_version:
      - 2
      - 0
    .max_flat_workgroup_size: 64
    .name:           _ZL9mul_mat_fI7__half2Li64ELi3ELi1ELb1EEvPKT_PKfPKiPfiiiiiiiiiiiiiiii
    .private_segment_fixed_size: 16
    .sgpr_count:     38
    .sgpr_spill_count: 0
    .symbol:         _ZL9mul_mat_fI7__half2Li64ELi3ELi1ELb1EEvPKT_PKfPKiPfiiiiiiiiiiiiiiii.kd
    .uniform_work_group_size: 1
    .uses_dynamic_stack: false
    .vgpr_count:     38
    .vgpr_spill_count: 0
    .wavefront_size: 64
  - .args:
      - .actual_access:  read_only
        .address_space:  global
        .offset:         0
        .size:           8
        .value_kind:     global_buffer
      - .actual_access:  read_only
        .address_space:  global
        .offset:         8
        .size:           8
        .value_kind:     global_buffer
      - .actual_access:  read_only
        .address_space:  global
        .offset:         16
        .size:           8
        .value_kind:     global_buffer
      - .actual_access:  read_only
        .address_space:  global
        .offset:         24
        .size:           8
        .value_kind:     global_buffer
      - .offset:         32
        .size:           4
        .value_kind:     by_value
      - .offset:         36
        .size:           4
        .value_kind:     by_value
      - .offset:         40
        .size:           4
        .value_kind:     by_value
      - .offset:         44
        .size:           4
        .value_kind:     by_value
      - .offset:         48
        .size:           4
        .value_kind:     by_value
      - .offset:         52
        .size:           4
        .value_kind:     by_value
      - .offset:         56
        .size:           4
        .value_kind:     by_value
      - .offset:         60
        .size:           4
        .value_kind:     by_value
      - .offset:         64
        .size:           4
        .value_kind:     by_value
      - .offset:         68
        .size:           4
        .value_kind:     by_value
      - .offset:         72
        .size:           4
        .value_kind:     by_value
      - .offset:         76
        .size:           4
        .value_kind:     by_value
      - .offset:         80
        .size:           4
        .value_kind:     by_value
      - .offset:         84
        .size:           4
        .value_kind:     by_value
      - .offset:         88
        .size:           4
        .value_kind:     by_value
      - .offset:         92
        .size:           4
        .value_kind:     by_value
      - .offset:         96
        .size:           4
        .value_kind:     hidden_block_count_x
      - .offset:         100
        .size:           4
        .value_kind:     hidden_block_count_y
      - .offset:         104
        .size:           4
        .value_kind:     hidden_block_count_z
      - .offset:         108
        .size:           2
        .value_kind:     hidden_group_size_x
      - .offset:         110
        .size:           2
        .value_kind:     hidden_group_size_y
      - .offset:         112
        .size:           2
        .value_kind:     hidden_group_size_z
      - .offset:         114
        .size:           2
        .value_kind:     hidden_remainder_x
      - .offset:         116
        .size:           2
        .value_kind:     hidden_remainder_y
      - .offset:         118
        .size:           2
        .value_kind:     hidden_remainder_z
      - .offset:         136
        .size:           8
        .value_kind:     hidden_global_offset_x
      - .offset:         144
        .size:           8
        .value_kind:     hidden_global_offset_y
      - .offset:         152
        .size:           8
        .value_kind:     hidden_global_offset_z
      - .offset:         160
        .size:           2
        .value_kind:     hidden_grid_dims
      - .offset:         176
        .size:           8
        .value_kind:     hidden_hostcall_buffer
    .group_segment_fixed_size: 0
    .kernarg_segment_align: 8
    .kernarg_segment_size: 352
    .language:       OpenCL C
    .language_version:
      - 2
      - 0
    .max_flat_workgroup_size: 64
    .name:           _ZL9mul_mat_fI7__half2Li64ELi3ELi1ELb0EEvPKT_PKfPKiPfiiiiiiiiiiiiiiii
    .private_segment_fixed_size: 16
    .sgpr_count:     38
    .sgpr_spill_count: 0
    .symbol:         _ZL9mul_mat_fI7__half2Li64ELi3ELi1ELb0EEvPKT_PKfPKiPfiiiiiiiiiiiiiiii.kd
    .uniform_work_group_size: 1
    .uses_dynamic_stack: false
    .vgpr_count:     38
    .vgpr_spill_count: 0
    .wavefront_size: 64
  - .args:
      - .actual_access:  read_only
        .address_space:  global
        .offset:         0
        .size:           8
        .value_kind:     global_buffer
      - .actual_access:  read_only
        .address_space:  global
        .offset:         8
        .size:           8
        .value_kind:     global_buffer
      - .actual_access:  read_only
        .address_space:  global
        .offset:         16
        .size:           8
        .value_kind:     global_buffer
      - .actual_access:  read_only
        .address_space:  global
        .offset:         24
        .size:           8
        .value_kind:     global_buffer
      - .actual_access:  read_only
        .address_space:  global
        .offset:         32
        .size:           8
        .value_kind:     global_buffer
      - .actual_access:  read_only
        .address_space:  global
        .offset:         40
        .size:           8
        .value_kind:     global_buffer
      - .offset:         48
        .size:           4
        .value_kind:     by_value
      - .offset:         52
        .size:           4
        .value_kind:     by_value
      - .offset:         56
        .size:           4
        .value_kind:     by_value
      - .offset:         60
        .size:           4
        .value_kind:     by_value
      - .offset:         64
        .size:           4
        .value_kind:     by_value
      - .offset:         68
        .size:           4
        .value_kind:     by_value
      - .offset:         72
        .size:           4
        .value_kind:     by_value
      - .offset:         76
        .size:           4
        .value_kind:     by_value
      - .offset:         80
        .size:           4
        .value_kind:     by_value
      - .offset:         84
        .size:           4
        .value_kind:     by_value
      - .offset:         88
        .size:           4
        .value_kind:     by_value
      - .offset:         92
        .size:           4
        .value_kind:     by_value
      - .offset:         96
        .size:           4
        .value_kind:     by_value
      - .offset:         100
        .size:           4
        .value_kind:     by_value
      - .offset:         104
        .size:           12
        .value_kind:     by_value
      - .offset:         116
        .size:           12
        .value_kind:     by_value
      - .offset:         128
        .size:           4
        .value_kind:     hidden_block_count_x
      - .offset:         132
        .size:           4
        .value_kind:     hidden_block_count_y
      - .offset:         136
        .size:           4
        .value_kind:     hidden_block_count_z
      - .offset:         140
        .size:           2
        .value_kind:     hidden_group_size_x
      - .offset:         142
        .size:           2
        .value_kind:     hidden_group_size_y
      - .offset:         144
        .size:           2
        .value_kind:     hidden_group_size_z
      - .offset:         146
        .size:           2
        .value_kind:     hidden_remainder_x
      - .offset:         148
        .size:           2
        .value_kind:     hidden_remainder_y
      - .offset:         150
        .size:           2
        .value_kind:     hidden_remainder_z
      - .offset:         168
        .size:           8
        .value_kind:     hidden_global_offset_x
      - .offset:         176
        .size:           8
        .value_kind:     hidden_global_offset_y
      - .offset:         184
        .size:           8
        .value_kind:     hidden_global_offset_z
      - .offset:         192
        .size:           2
        .value_kind:     hidden_grid_dims
      - .offset:         208
        .size:           8
        .value_kind:     hidden_hostcall_buffer
    .group_segment_fixed_size: 0
    .kernarg_segment_align: 8
    .kernarg_segment_size: 384
    .language:       OpenCL C
    .language_version:
      - 2
      - 0
    .max_flat_workgroup_size: 128
    .name:           _ZL13mul_mat_f_idsI7__half2Li64ELi3ELi2EEvPKT_PKfPKiS7_S7_Pfiiiiiiiiiiiiii15HIP_vector_typeIjLj3EESA_
    .private_segment_fixed_size: 16
    .sgpr_count:     38
    .sgpr_spill_count: 0
    .symbol:         _ZL13mul_mat_f_idsI7__half2Li64ELi3ELi2EEvPKT_PKfPKiS7_S7_Pfiiiiiiiiiiiiii15HIP_vector_typeIjLj3EESA_.kd
    .uniform_work_group_size: 1
    .uses_dynamic_stack: false
    .vgpr_count:     38
    .vgpr_spill_count: 0
    .wavefront_size: 64
  - .args:
      - .actual_access:  read_only
        .address_space:  global
        .offset:         0
        .size:           8
        .value_kind:     global_buffer
      - .actual_access:  read_only
        .address_space:  global
        .offset:         8
        .size:           8
        .value_kind:     global_buffer
      - .actual_access:  read_only
        .address_space:  global
        .offset:         16
        .size:           8
        .value_kind:     global_buffer
      - .actual_access:  read_only
        .address_space:  global
        .offset:         24
        .size:           8
        .value_kind:     global_buffer
      - .offset:         32
        .size:           4
        .value_kind:     by_value
      - .offset:         36
        .size:           4
        .value_kind:     by_value
      - .offset:         40
        .size:           4
        .value_kind:     by_value
      - .offset:         44
        .size:           4
        .value_kind:     by_value
      - .offset:         48
        .size:           4
        .value_kind:     by_value
      - .offset:         52
        .size:           4
        .value_kind:     by_value
      - .offset:         56
        .size:           4
        .value_kind:     by_value
      - .offset:         60
        .size:           4
        .value_kind:     by_value
      - .offset:         64
        .size:           4
        .value_kind:     by_value
      - .offset:         68
        .size:           4
        .value_kind:     by_value
      - .offset:         72
        .size:           4
        .value_kind:     by_value
      - .offset:         76
        .size:           4
        .value_kind:     by_value
      - .offset:         80
        .size:           4
        .value_kind:     by_value
      - .offset:         84
        .size:           4
        .value_kind:     by_value
      - .offset:         88
        .size:           4
        .value_kind:     by_value
      - .offset:         92
        .size:           4
        .value_kind:     by_value
      - .offset:         96
        .size:           4
        .value_kind:     hidden_block_count_x
      - .offset:         100
        .size:           4
        .value_kind:     hidden_block_count_y
      - .offset:         104
        .size:           4
        .value_kind:     hidden_block_count_z
      - .offset:         108
        .size:           2
        .value_kind:     hidden_group_size_x
      - .offset:         110
        .size:           2
        .value_kind:     hidden_group_size_y
      - .offset:         112
        .size:           2
        .value_kind:     hidden_group_size_z
      - .offset:         114
        .size:           2
        .value_kind:     hidden_remainder_x
      - .offset:         116
        .size:           2
        .value_kind:     hidden_remainder_y
      - .offset:         118
        .size:           2
        .value_kind:     hidden_remainder_z
      - .offset:         136
        .size:           8
        .value_kind:     hidden_global_offset_x
      - .offset:         144
        .size:           8
        .value_kind:     hidden_global_offset_y
      - .offset:         152
        .size:           8
        .value_kind:     hidden_global_offset_z
      - .offset:         160
        .size:           2
        .value_kind:     hidden_grid_dims
      - .offset:         176
        .size:           8
        .value_kind:     hidden_hostcall_buffer
    .group_segment_fixed_size: 0
    .kernarg_segment_align: 8
    .kernarg_segment_size: 352
    .language:       OpenCL C
    .language_version:
      - 2
      - 0
    .max_flat_workgroup_size: 128
    .name:           _ZL9mul_mat_fI7__half2Li64ELi3ELi2ELb1EEvPKT_PKfPKiPfiiiiiiiiiiiiiiii
    .private_segment_fixed_size: 16
    .sgpr_count:     38
    .sgpr_spill_count: 0
    .symbol:         _ZL9mul_mat_fI7__half2Li64ELi3ELi2ELb1EEvPKT_PKfPKiPfiiiiiiiiiiiiiiii.kd
    .uniform_work_group_size: 1
    .uses_dynamic_stack: false
    .vgpr_count:     38
    .vgpr_spill_count: 0
    .wavefront_size: 64
  - .args:
      - .actual_access:  read_only
        .address_space:  global
        .offset:         0
        .size:           8
        .value_kind:     global_buffer
      - .actual_access:  read_only
        .address_space:  global
        .offset:         8
        .size:           8
        .value_kind:     global_buffer
      - .actual_access:  read_only
        .address_space:  global
        .offset:         16
        .size:           8
        .value_kind:     global_buffer
      - .actual_access:  read_only
        .address_space:  global
        .offset:         24
        .size:           8
        .value_kind:     global_buffer
      - .offset:         32
        .size:           4
        .value_kind:     by_value
      - .offset:         36
        .size:           4
        .value_kind:     by_value
      - .offset:         40
        .size:           4
        .value_kind:     by_value
      - .offset:         44
        .size:           4
        .value_kind:     by_value
      - .offset:         48
        .size:           4
        .value_kind:     by_value
      - .offset:         52
        .size:           4
        .value_kind:     by_value
      - .offset:         56
        .size:           4
        .value_kind:     by_value
      - .offset:         60
        .size:           4
        .value_kind:     by_value
      - .offset:         64
        .size:           4
        .value_kind:     by_value
      - .offset:         68
        .size:           4
        .value_kind:     by_value
      - .offset:         72
        .size:           4
        .value_kind:     by_value
      - .offset:         76
        .size:           4
        .value_kind:     by_value
      - .offset:         80
        .size:           4
        .value_kind:     by_value
      - .offset:         84
        .size:           4
        .value_kind:     by_value
      - .offset:         88
        .size:           4
        .value_kind:     by_value
      - .offset:         92
        .size:           4
        .value_kind:     by_value
      - .offset:         96
        .size:           4
        .value_kind:     hidden_block_count_x
      - .offset:         100
        .size:           4
        .value_kind:     hidden_block_count_y
      - .offset:         104
        .size:           4
        .value_kind:     hidden_block_count_z
      - .offset:         108
        .size:           2
        .value_kind:     hidden_group_size_x
      - .offset:         110
        .size:           2
        .value_kind:     hidden_group_size_y
      - .offset:         112
        .size:           2
        .value_kind:     hidden_group_size_z
      - .offset:         114
        .size:           2
        .value_kind:     hidden_remainder_x
      - .offset:         116
        .size:           2
        .value_kind:     hidden_remainder_y
      - .offset:         118
        .size:           2
        .value_kind:     hidden_remainder_z
      - .offset:         136
        .size:           8
        .value_kind:     hidden_global_offset_x
      - .offset:         144
        .size:           8
        .value_kind:     hidden_global_offset_y
      - .offset:         152
        .size:           8
        .value_kind:     hidden_global_offset_z
      - .offset:         160
        .size:           2
        .value_kind:     hidden_grid_dims
      - .offset:         176
        .size:           8
        .value_kind:     hidden_hostcall_buffer
    .group_segment_fixed_size: 0
    .kernarg_segment_align: 8
    .kernarg_segment_size: 352
    .language:       OpenCL C
    .language_version:
      - 2
      - 0
    .max_flat_workgroup_size: 128
    .name:           _ZL9mul_mat_fI7__half2Li64ELi3ELi2ELb0EEvPKT_PKfPKiPfiiiiiiiiiiiiiiii
    .private_segment_fixed_size: 16
    .sgpr_count:     38
    .sgpr_spill_count: 0
    .symbol:         _ZL9mul_mat_fI7__half2Li64ELi3ELi2ELb0EEvPKT_PKfPKiPfiiiiiiiiiiiiiiii.kd
    .uniform_work_group_size: 1
    .uses_dynamic_stack: false
    .vgpr_count:     38
    .vgpr_spill_count: 0
    .wavefront_size: 64
  - .args:
      - .actual_access:  read_only
        .address_space:  global
        .offset:         0
        .size:           8
        .value_kind:     global_buffer
      - .actual_access:  read_only
        .address_space:  global
        .offset:         8
        .size:           8
        .value_kind:     global_buffer
      - .actual_access:  read_only
        .address_space:  global
        .offset:         16
        .size:           8
        .value_kind:     global_buffer
      - .actual_access:  read_only
        .address_space:  global
        .offset:         24
        .size:           8
        .value_kind:     global_buffer
      - .actual_access:  read_only
        .address_space:  global
        .offset:         32
        .size:           8
        .value_kind:     global_buffer
      - .actual_access:  read_only
        .address_space:  global
        .offset:         40
        .size:           8
        .value_kind:     global_buffer
      - .offset:         48
        .size:           4
        .value_kind:     by_value
      - .offset:         52
        .size:           4
        .value_kind:     by_value
      - .offset:         56
        .size:           4
        .value_kind:     by_value
      - .offset:         60
        .size:           4
        .value_kind:     by_value
      - .offset:         64
        .size:           4
        .value_kind:     by_value
      - .offset:         68
        .size:           4
        .value_kind:     by_value
      - .offset:         72
        .size:           4
        .value_kind:     by_value
      - .offset:         76
        .size:           4
        .value_kind:     by_value
      - .offset:         80
        .size:           4
        .value_kind:     by_value
      - .offset:         84
        .size:           4
        .value_kind:     by_value
      - .offset:         88
        .size:           4
        .value_kind:     by_value
      - .offset:         92
        .size:           4
        .value_kind:     by_value
      - .offset:         96
        .size:           4
        .value_kind:     by_value
      - .offset:         100
        .size:           4
        .value_kind:     by_value
      - .offset:         104
        .size:           12
        .value_kind:     by_value
      - .offset:         116
        .size:           12
        .value_kind:     by_value
      - .offset:         128
        .size:           4
        .value_kind:     hidden_block_count_x
      - .offset:         132
        .size:           4
        .value_kind:     hidden_block_count_y
      - .offset:         136
        .size:           4
        .value_kind:     hidden_block_count_z
      - .offset:         140
        .size:           2
        .value_kind:     hidden_group_size_x
      - .offset:         142
        .size:           2
        .value_kind:     hidden_group_size_y
      - .offset:         144
        .size:           2
        .value_kind:     hidden_group_size_z
      - .offset:         146
        .size:           2
        .value_kind:     hidden_remainder_x
      - .offset:         148
        .size:           2
        .value_kind:     hidden_remainder_y
      - .offset:         150
        .size:           2
        .value_kind:     hidden_remainder_z
      - .offset:         168
        .size:           8
        .value_kind:     hidden_global_offset_x
      - .offset:         176
        .size:           8
        .value_kind:     hidden_global_offset_y
      - .offset:         184
        .size:           8
        .value_kind:     hidden_global_offset_z
      - .offset:         192
        .size:           2
        .value_kind:     hidden_grid_dims
      - .offset:         208
        .size:           8
        .value_kind:     hidden_hostcall_buffer
    .group_segment_fixed_size: 0
    .kernarg_segment_align: 8
    .kernarg_segment_size: 384
    .language:       OpenCL C
    .language_version:
      - 2
      - 0
    .max_flat_workgroup_size: 192
    .name:           _ZL13mul_mat_f_idsI7__half2Li64ELi3ELi3EEvPKT_PKfPKiS7_S7_Pfiiiiiiiiiiiiii15HIP_vector_typeIjLj3EESA_
    .private_segment_fixed_size: 16
    .sgpr_count:     38
    .sgpr_spill_count: 0
    .symbol:         _ZL13mul_mat_f_idsI7__half2Li64ELi3ELi3EEvPKT_PKfPKiS7_S7_Pfiiiiiiiiiiiiii15HIP_vector_typeIjLj3EESA_.kd
    .uniform_work_group_size: 1
    .uses_dynamic_stack: false
    .vgpr_count:     38
    .vgpr_spill_count: 0
    .wavefront_size: 64
  - .args:
      - .actual_access:  read_only
        .address_space:  global
        .offset:         0
        .size:           8
        .value_kind:     global_buffer
      - .actual_access:  read_only
        .address_space:  global
        .offset:         8
        .size:           8
        .value_kind:     global_buffer
      - .actual_access:  read_only
        .address_space:  global
        .offset:         16
        .size:           8
        .value_kind:     global_buffer
      - .actual_access:  read_only
        .address_space:  global
        .offset:         24
        .size:           8
        .value_kind:     global_buffer
      - .offset:         32
        .size:           4
        .value_kind:     by_value
      - .offset:         36
        .size:           4
        .value_kind:     by_value
      - .offset:         40
        .size:           4
        .value_kind:     by_value
      - .offset:         44
        .size:           4
        .value_kind:     by_value
      - .offset:         48
        .size:           4
        .value_kind:     by_value
      - .offset:         52
        .size:           4
        .value_kind:     by_value
      - .offset:         56
        .size:           4
        .value_kind:     by_value
      - .offset:         60
        .size:           4
        .value_kind:     by_value
      - .offset:         64
        .size:           4
        .value_kind:     by_value
      - .offset:         68
        .size:           4
        .value_kind:     by_value
      - .offset:         72
        .size:           4
        .value_kind:     by_value
      - .offset:         76
        .size:           4
        .value_kind:     by_value
      - .offset:         80
        .size:           4
        .value_kind:     by_value
      - .offset:         84
        .size:           4
        .value_kind:     by_value
      - .offset:         88
        .size:           4
        .value_kind:     by_value
      - .offset:         92
        .size:           4
        .value_kind:     by_value
      - .offset:         96
        .size:           4
        .value_kind:     hidden_block_count_x
      - .offset:         100
        .size:           4
        .value_kind:     hidden_block_count_y
      - .offset:         104
        .size:           4
        .value_kind:     hidden_block_count_z
      - .offset:         108
        .size:           2
        .value_kind:     hidden_group_size_x
      - .offset:         110
        .size:           2
        .value_kind:     hidden_group_size_y
      - .offset:         112
        .size:           2
        .value_kind:     hidden_group_size_z
      - .offset:         114
        .size:           2
        .value_kind:     hidden_remainder_x
      - .offset:         116
        .size:           2
        .value_kind:     hidden_remainder_y
      - .offset:         118
        .size:           2
        .value_kind:     hidden_remainder_z
      - .offset:         136
        .size:           8
        .value_kind:     hidden_global_offset_x
      - .offset:         144
        .size:           8
        .value_kind:     hidden_global_offset_y
      - .offset:         152
        .size:           8
        .value_kind:     hidden_global_offset_z
      - .offset:         160
        .size:           2
        .value_kind:     hidden_grid_dims
      - .offset:         176
        .size:           8
        .value_kind:     hidden_hostcall_buffer
    .group_segment_fixed_size: 0
    .kernarg_segment_align: 8
    .kernarg_segment_size: 352
    .language:       OpenCL C
    .language_version:
      - 2
      - 0
    .max_flat_workgroup_size: 192
    .name:           _ZL9mul_mat_fI7__half2Li64ELi3ELi3ELb1EEvPKT_PKfPKiPfiiiiiiiiiiiiiiii
    .private_segment_fixed_size: 16
    .sgpr_count:     38
    .sgpr_spill_count: 0
    .symbol:         _ZL9mul_mat_fI7__half2Li64ELi3ELi3ELb1EEvPKT_PKfPKiPfiiiiiiiiiiiiiiii.kd
    .uniform_work_group_size: 1
    .uses_dynamic_stack: false
    .vgpr_count:     38
    .vgpr_spill_count: 0
    .wavefront_size: 64
  - .args:
      - .actual_access:  read_only
        .address_space:  global
        .offset:         0
        .size:           8
        .value_kind:     global_buffer
      - .actual_access:  read_only
        .address_space:  global
        .offset:         8
        .size:           8
        .value_kind:     global_buffer
      - .actual_access:  read_only
        .address_space:  global
        .offset:         16
        .size:           8
        .value_kind:     global_buffer
      - .actual_access:  read_only
        .address_space:  global
        .offset:         24
        .size:           8
        .value_kind:     global_buffer
      - .offset:         32
        .size:           4
        .value_kind:     by_value
      - .offset:         36
        .size:           4
        .value_kind:     by_value
      - .offset:         40
        .size:           4
        .value_kind:     by_value
      - .offset:         44
        .size:           4
        .value_kind:     by_value
      - .offset:         48
        .size:           4
        .value_kind:     by_value
      - .offset:         52
        .size:           4
        .value_kind:     by_value
      - .offset:         56
        .size:           4
        .value_kind:     by_value
      - .offset:         60
        .size:           4
        .value_kind:     by_value
      - .offset:         64
        .size:           4
        .value_kind:     by_value
      - .offset:         68
        .size:           4
        .value_kind:     by_value
      - .offset:         72
        .size:           4
        .value_kind:     by_value
      - .offset:         76
        .size:           4
        .value_kind:     by_value
      - .offset:         80
        .size:           4
        .value_kind:     by_value
      - .offset:         84
        .size:           4
        .value_kind:     by_value
      - .offset:         88
        .size:           4
        .value_kind:     by_value
      - .offset:         92
        .size:           4
        .value_kind:     by_value
      - .offset:         96
        .size:           4
        .value_kind:     hidden_block_count_x
      - .offset:         100
        .size:           4
        .value_kind:     hidden_block_count_y
      - .offset:         104
        .size:           4
        .value_kind:     hidden_block_count_z
      - .offset:         108
        .size:           2
        .value_kind:     hidden_group_size_x
      - .offset:         110
        .size:           2
        .value_kind:     hidden_group_size_y
      - .offset:         112
        .size:           2
        .value_kind:     hidden_group_size_z
      - .offset:         114
        .size:           2
        .value_kind:     hidden_remainder_x
      - .offset:         116
        .size:           2
        .value_kind:     hidden_remainder_y
      - .offset:         118
        .size:           2
        .value_kind:     hidden_remainder_z
      - .offset:         136
        .size:           8
        .value_kind:     hidden_global_offset_x
      - .offset:         144
        .size:           8
        .value_kind:     hidden_global_offset_y
      - .offset:         152
        .size:           8
        .value_kind:     hidden_global_offset_z
      - .offset:         160
        .size:           2
        .value_kind:     hidden_grid_dims
      - .offset:         176
        .size:           8
        .value_kind:     hidden_hostcall_buffer
    .group_segment_fixed_size: 0
    .kernarg_segment_align: 8
    .kernarg_segment_size: 352
    .language:       OpenCL C
    .language_version:
      - 2
      - 0
    .max_flat_workgroup_size: 192
    .name:           _ZL9mul_mat_fI7__half2Li64ELi3ELi3ELb0EEvPKT_PKfPKiPfiiiiiiiiiiiiiiii
    .private_segment_fixed_size: 16
    .sgpr_count:     38
    .sgpr_spill_count: 0
    .symbol:         _ZL9mul_mat_fI7__half2Li64ELi3ELi3ELb0EEvPKT_PKfPKiPfiiiiiiiiiiiiiiii.kd
    .uniform_work_group_size: 1
    .uses_dynamic_stack: false
    .vgpr_count:     38
    .vgpr_spill_count: 0
    .wavefront_size: 64
  - .args:
      - .actual_access:  read_only
        .address_space:  global
        .offset:         0
        .size:           8
        .value_kind:     global_buffer
      - .actual_access:  read_only
        .address_space:  global
        .offset:         8
        .size:           8
        .value_kind:     global_buffer
      - .actual_access:  read_only
        .address_space:  global
        .offset:         16
        .size:           8
        .value_kind:     global_buffer
      - .actual_access:  read_only
        .address_space:  global
        .offset:         24
        .size:           8
        .value_kind:     global_buffer
      - .actual_access:  read_only
        .address_space:  global
        .offset:         32
        .size:           8
        .value_kind:     global_buffer
      - .actual_access:  read_only
        .address_space:  global
        .offset:         40
        .size:           8
        .value_kind:     global_buffer
      - .offset:         48
        .size:           4
        .value_kind:     by_value
      - .offset:         52
        .size:           4
        .value_kind:     by_value
      - .offset:         56
        .size:           4
        .value_kind:     by_value
      - .offset:         60
        .size:           4
        .value_kind:     by_value
      - .offset:         64
        .size:           4
        .value_kind:     by_value
      - .offset:         68
        .size:           4
        .value_kind:     by_value
      - .offset:         72
        .size:           4
        .value_kind:     by_value
      - .offset:         76
        .size:           4
        .value_kind:     by_value
      - .offset:         80
        .size:           4
        .value_kind:     by_value
      - .offset:         84
        .size:           4
        .value_kind:     by_value
      - .offset:         88
        .size:           4
        .value_kind:     by_value
      - .offset:         92
        .size:           4
        .value_kind:     by_value
      - .offset:         96
        .size:           4
        .value_kind:     by_value
      - .offset:         100
        .size:           4
        .value_kind:     by_value
      - .offset:         104
        .size:           12
        .value_kind:     by_value
      - .offset:         116
        .size:           12
        .value_kind:     by_value
      - .offset:         128
        .size:           4
        .value_kind:     hidden_block_count_x
      - .offset:         132
        .size:           4
        .value_kind:     hidden_block_count_y
      - .offset:         136
        .size:           4
        .value_kind:     hidden_block_count_z
      - .offset:         140
        .size:           2
        .value_kind:     hidden_group_size_x
      - .offset:         142
        .size:           2
        .value_kind:     hidden_group_size_y
      - .offset:         144
        .size:           2
        .value_kind:     hidden_group_size_z
      - .offset:         146
        .size:           2
        .value_kind:     hidden_remainder_x
      - .offset:         148
        .size:           2
        .value_kind:     hidden_remainder_y
      - .offset:         150
        .size:           2
        .value_kind:     hidden_remainder_z
      - .offset:         168
        .size:           8
        .value_kind:     hidden_global_offset_x
      - .offset:         176
        .size:           8
        .value_kind:     hidden_global_offset_y
      - .offset:         184
        .size:           8
        .value_kind:     hidden_global_offset_z
      - .offset:         192
        .size:           2
        .value_kind:     hidden_grid_dims
      - .offset:         208
        .size:           8
        .value_kind:     hidden_hostcall_buffer
    .group_segment_fixed_size: 0
    .kernarg_segment_align: 8
    .kernarg_segment_size: 384
    .language:       OpenCL C
    .language_version:
      - 2
      - 0
    .max_flat_workgroup_size: 256
    .name:           _ZL13mul_mat_f_idsI7__half2Li64ELi3ELi4EEvPKT_PKfPKiS7_S7_Pfiiiiiiiiiiiiii15HIP_vector_typeIjLj3EESA_
    .private_segment_fixed_size: 16
    .sgpr_count:     38
    .sgpr_spill_count: 0
    .symbol:         _ZL13mul_mat_f_idsI7__half2Li64ELi3ELi4EEvPKT_PKfPKiS7_S7_Pfiiiiiiiiiiiiii15HIP_vector_typeIjLj3EESA_.kd
    .uniform_work_group_size: 1
    .uses_dynamic_stack: false
    .vgpr_count:     38
    .vgpr_spill_count: 0
    .wavefront_size: 64
  - .args:
      - .actual_access:  read_only
        .address_space:  global
        .offset:         0
        .size:           8
        .value_kind:     global_buffer
      - .actual_access:  read_only
        .address_space:  global
        .offset:         8
        .size:           8
        .value_kind:     global_buffer
      - .actual_access:  read_only
        .address_space:  global
        .offset:         16
        .size:           8
        .value_kind:     global_buffer
      - .actual_access:  read_only
        .address_space:  global
        .offset:         24
        .size:           8
        .value_kind:     global_buffer
      - .offset:         32
        .size:           4
        .value_kind:     by_value
      - .offset:         36
        .size:           4
        .value_kind:     by_value
      - .offset:         40
        .size:           4
        .value_kind:     by_value
      - .offset:         44
        .size:           4
        .value_kind:     by_value
      - .offset:         48
        .size:           4
        .value_kind:     by_value
      - .offset:         52
        .size:           4
        .value_kind:     by_value
      - .offset:         56
        .size:           4
        .value_kind:     by_value
      - .offset:         60
        .size:           4
        .value_kind:     by_value
      - .offset:         64
        .size:           4
        .value_kind:     by_value
      - .offset:         68
        .size:           4
        .value_kind:     by_value
      - .offset:         72
        .size:           4
        .value_kind:     by_value
      - .offset:         76
        .size:           4
        .value_kind:     by_value
      - .offset:         80
        .size:           4
        .value_kind:     by_value
      - .offset:         84
        .size:           4
        .value_kind:     by_value
      - .offset:         88
        .size:           4
        .value_kind:     by_value
      - .offset:         92
        .size:           4
        .value_kind:     by_value
      - .offset:         96
        .size:           4
        .value_kind:     hidden_block_count_x
      - .offset:         100
        .size:           4
        .value_kind:     hidden_block_count_y
      - .offset:         104
        .size:           4
        .value_kind:     hidden_block_count_z
      - .offset:         108
        .size:           2
        .value_kind:     hidden_group_size_x
      - .offset:         110
        .size:           2
        .value_kind:     hidden_group_size_y
      - .offset:         112
        .size:           2
        .value_kind:     hidden_group_size_z
      - .offset:         114
        .size:           2
        .value_kind:     hidden_remainder_x
      - .offset:         116
        .size:           2
        .value_kind:     hidden_remainder_y
      - .offset:         118
        .size:           2
        .value_kind:     hidden_remainder_z
      - .offset:         136
        .size:           8
        .value_kind:     hidden_global_offset_x
      - .offset:         144
        .size:           8
        .value_kind:     hidden_global_offset_y
      - .offset:         152
        .size:           8
        .value_kind:     hidden_global_offset_z
      - .offset:         160
        .size:           2
        .value_kind:     hidden_grid_dims
      - .offset:         176
        .size:           8
        .value_kind:     hidden_hostcall_buffer
    .group_segment_fixed_size: 0
    .kernarg_segment_align: 8
    .kernarg_segment_size: 352
    .language:       OpenCL C
    .language_version:
      - 2
      - 0
    .max_flat_workgroup_size: 256
    .name:           _ZL9mul_mat_fI7__half2Li64ELi3ELi4ELb1EEvPKT_PKfPKiPfiiiiiiiiiiiiiiii
    .private_segment_fixed_size: 16
    .sgpr_count:     38
    .sgpr_spill_count: 0
    .symbol:         _ZL9mul_mat_fI7__half2Li64ELi3ELi4ELb1EEvPKT_PKfPKiPfiiiiiiiiiiiiiiii.kd
    .uniform_work_group_size: 1
    .uses_dynamic_stack: false
    .vgpr_count:     38
    .vgpr_spill_count: 0
    .wavefront_size: 64
  - .args:
      - .actual_access:  read_only
        .address_space:  global
        .offset:         0
        .size:           8
        .value_kind:     global_buffer
      - .actual_access:  read_only
        .address_space:  global
        .offset:         8
        .size:           8
        .value_kind:     global_buffer
      - .actual_access:  read_only
        .address_space:  global
        .offset:         16
        .size:           8
        .value_kind:     global_buffer
      - .actual_access:  read_only
        .address_space:  global
        .offset:         24
        .size:           8
        .value_kind:     global_buffer
      - .offset:         32
        .size:           4
        .value_kind:     by_value
      - .offset:         36
        .size:           4
        .value_kind:     by_value
      - .offset:         40
        .size:           4
        .value_kind:     by_value
      - .offset:         44
        .size:           4
        .value_kind:     by_value
      - .offset:         48
        .size:           4
        .value_kind:     by_value
      - .offset:         52
        .size:           4
        .value_kind:     by_value
      - .offset:         56
        .size:           4
        .value_kind:     by_value
      - .offset:         60
        .size:           4
        .value_kind:     by_value
      - .offset:         64
        .size:           4
        .value_kind:     by_value
      - .offset:         68
        .size:           4
        .value_kind:     by_value
      - .offset:         72
        .size:           4
        .value_kind:     by_value
      - .offset:         76
        .size:           4
        .value_kind:     by_value
      - .offset:         80
        .size:           4
        .value_kind:     by_value
      - .offset:         84
        .size:           4
        .value_kind:     by_value
      - .offset:         88
        .size:           4
        .value_kind:     by_value
      - .offset:         92
        .size:           4
        .value_kind:     by_value
      - .offset:         96
        .size:           4
        .value_kind:     hidden_block_count_x
      - .offset:         100
        .size:           4
        .value_kind:     hidden_block_count_y
      - .offset:         104
        .size:           4
        .value_kind:     hidden_block_count_z
      - .offset:         108
        .size:           2
        .value_kind:     hidden_group_size_x
      - .offset:         110
        .size:           2
        .value_kind:     hidden_group_size_y
      - .offset:         112
        .size:           2
        .value_kind:     hidden_group_size_z
      - .offset:         114
        .size:           2
        .value_kind:     hidden_remainder_x
      - .offset:         116
        .size:           2
        .value_kind:     hidden_remainder_y
      - .offset:         118
        .size:           2
        .value_kind:     hidden_remainder_z
      - .offset:         136
        .size:           8
        .value_kind:     hidden_global_offset_x
      - .offset:         144
        .size:           8
        .value_kind:     hidden_global_offset_y
      - .offset:         152
        .size:           8
        .value_kind:     hidden_global_offset_z
      - .offset:         160
        .size:           2
        .value_kind:     hidden_grid_dims
      - .offset:         176
        .size:           8
        .value_kind:     hidden_hostcall_buffer
    .group_segment_fixed_size: 0
    .kernarg_segment_align: 8
    .kernarg_segment_size: 352
    .language:       OpenCL C
    .language_version:
      - 2
      - 0
    .max_flat_workgroup_size: 256
    .name:           _ZL9mul_mat_fI7__half2Li64ELi3ELi4ELb0EEvPKT_PKfPKiPfiiiiiiiiiiiiiiii
    .private_segment_fixed_size: 16
    .sgpr_count:     38
    .sgpr_spill_count: 0
    .symbol:         _ZL9mul_mat_fI7__half2Li64ELi3ELi4ELb0EEvPKT_PKfPKiPfiiiiiiiiiiiiiiii.kd
    .uniform_work_group_size: 1
    .uses_dynamic_stack: false
    .vgpr_count:     38
    .vgpr_spill_count: 0
    .wavefront_size: 64
  - .args:
      - .actual_access:  read_only
        .address_space:  global
        .offset:         0
        .size:           8
        .value_kind:     global_buffer
      - .actual_access:  read_only
        .address_space:  global
        .offset:         8
        .size:           8
        .value_kind:     global_buffer
      - .actual_access:  read_only
        .address_space:  global
        .offset:         16
        .size:           8
        .value_kind:     global_buffer
      - .actual_access:  read_only
        .address_space:  global
        .offset:         24
        .size:           8
        .value_kind:     global_buffer
      - .actual_access:  read_only
        .address_space:  global
        .offset:         32
        .size:           8
        .value_kind:     global_buffer
      - .actual_access:  read_only
        .address_space:  global
        .offset:         40
        .size:           8
        .value_kind:     global_buffer
      - .offset:         48
        .size:           4
        .value_kind:     by_value
      - .offset:         52
        .size:           4
        .value_kind:     by_value
      - .offset:         56
        .size:           4
        .value_kind:     by_value
      - .offset:         60
        .size:           4
        .value_kind:     by_value
      - .offset:         64
        .size:           4
        .value_kind:     by_value
      - .offset:         68
        .size:           4
        .value_kind:     by_value
      - .offset:         72
        .size:           4
        .value_kind:     by_value
      - .offset:         76
        .size:           4
        .value_kind:     by_value
      - .offset:         80
        .size:           4
        .value_kind:     by_value
      - .offset:         84
        .size:           4
        .value_kind:     by_value
      - .offset:         88
        .size:           4
        .value_kind:     by_value
      - .offset:         92
        .size:           4
        .value_kind:     by_value
      - .offset:         96
        .size:           4
        .value_kind:     by_value
      - .offset:         100
        .size:           4
        .value_kind:     by_value
      - .offset:         104
        .size:           12
        .value_kind:     by_value
      - .offset:         116
        .size:           12
        .value_kind:     by_value
      - .offset:         128
        .size:           4
        .value_kind:     hidden_block_count_x
      - .offset:         132
        .size:           4
        .value_kind:     hidden_block_count_y
      - .offset:         136
        .size:           4
        .value_kind:     hidden_block_count_z
      - .offset:         140
        .size:           2
        .value_kind:     hidden_group_size_x
      - .offset:         142
        .size:           2
        .value_kind:     hidden_group_size_y
      - .offset:         144
        .size:           2
        .value_kind:     hidden_group_size_z
      - .offset:         146
        .size:           2
        .value_kind:     hidden_remainder_x
      - .offset:         148
        .size:           2
        .value_kind:     hidden_remainder_y
      - .offset:         150
        .size:           2
        .value_kind:     hidden_remainder_z
      - .offset:         168
        .size:           8
        .value_kind:     hidden_global_offset_x
      - .offset:         176
        .size:           8
        .value_kind:     hidden_global_offset_y
      - .offset:         184
        .size:           8
        .value_kind:     hidden_global_offset_z
      - .offset:         192
        .size:           2
        .value_kind:     hidden_grid_dims
      - .offset:         208
        .size:           8
        .value_kind:     hidden_hostcall_buffer
    .group_segment_fixed_size: 0
    .kernarg_segment_align: 8
    .kernarg_segment_size: 384
    .language:       OpenCL C
    .language_version:
      - 2
      - 0
    .max_flat_workgroup_size: 320
    .name:           _ZL13mul_mat_f_idsI7__half2Li64ELi3ELi5EEvPKT_PKfPKiS7_S7_Pfiiiiiiiiiiiiii15HIP_vector_typeIjLj3EESA_
    .private_segment_fixed_size: 16
    .sgpr_count:     38
    .sgpr_spill_count: 0
    .symbol:         _ZL13mul_mat_f_idsI7__half2Li64ELi3ELi5EEvPKT_PKfPKiS7_S7_Pfiiiiiiiiiiiiii15HIP_vector_typeIjLj3EESA_.kd
    .uniform_work_group_size: 1
    .uses_dynamic_stack: false
    .vgpr_count:     38
    .vgpr_spill_count: 0
    .wavefront_size: 64
  - .args:
      - .actual_access:  read_only
        .address_space:  global
        .offset:         0
        .size:           8
        .value_kind:     global_buffer
      - .actual_access:  read_only
        .address_space:  global
        .offset:         8
        .size:           8
        .value_kind:     global_buffer
      - .actual_access:  read_only
        .address_space:  global
        .offset:         16
        .size:           8
        .value_kind:     global_buffer
      - .actual_access:  read_only
        .address_space:  global
        .offset:         24
        .size:           8
        .value_kind:     global_buffer
      - .offset:         32
        .size:           4
        .value_kind:     by_value
      - .offset:         36
        .size:           4
        .value_kind:     by_value
      - .offset:         40
        .size:           4
        .value_kind:     by_value
      - .offset:         44
        .size:           4
        .value_kind:     by_value
      - .offset:         48
        .size:           4
        .value_kind:     by_value
      - .offset:         52
        .size:           4
        .value_kind:     by_value
      - .offset:         56
        .size:           4
        .value_kind:     by_value
      - .offset:         60
        .size:           4
        .value_kind:     by_value
      - .offset:         64
        .size:           4
        .value_kind:     by_value
      - .offset:         68
        .size:           4
        .value_kind:     by_value
      - .offset:         72
        .size:           4
        .value_kind:     by_value
      - .offset:         76
        .size:           4
        .value_kind:     by_value
      - .offset:         80
        .size:           4
        .value_kind:     by_value
      - .offset:         84
        .size:           4
        .value_kind:     by_value
      - .offset:         88
        .size:           4
        .value_kind:     by_value
      - .offset:         92
        .size:           4
        .value_kind:     by_value
      - .offset:         96
        .size:           4
        .value_kind:     hidden_block_count_x
      - .offset:         100
        .size:           4
        .value_kind:     hidden_block_count_y
      - .offset:         104
        .size:           4
        .value_kind:     hidden_block_count_z
      - .offset:         108
        .size:           2
        .value_kind:     hidden_group_size_x
      - .offset:         110
        .size:           2
        .value_kind:     hidden_group_size_y
      - .offset:         112
        .size:           2
        .value_kind:     hidden_group_size_z
      - .offset:         114
        .size:           2
        .value_kind:     hidden_remainder_x
      - .offset:         116
        .size:           2
        .value_kind:     hidden_remainder_y
      - .offset:         118
        .size:           2
        .value_kind:     hidden_remainder_z
      - .offset:         136
        .size:           8
        .value_kind:     hidden_global_offset_x
      - .offset:         144
        .size:           8
        .value_kind:     hidden_global_offset_y
      - .offset:         152
        .size:           8
        .value_kind:     hidden_global_offset_z
      - .offset:         160
        .size:           2
        .value_kind:     hidden_grid_dims
      - .offset:         176
        .size:           8
        .value_kind:     hidden_hostcall_buffer
    .group_segment_fixed_size: 0
    .kernarg_segment_align: 8
    .kernarg_segment_size: 352
    .language:       OpenCL C
    .language_version:
      - 2
      - 0
    .max_flat_workgroup_size: 320
    .name:           _ZL9mul_mat_fI7__half2Li64ELi3ELi5ELb1EEvPKT_PKfPKiPfiiiiiiiiiiiiiiii
    .private_segment_fixed_size: 16
    .sgpr_count:     38
    .sgpr_spill_count: 0
    .symbol:         _ZL9mul_mat_fI7__half2Li64ELi3ELi5ELb1EEvPKT_PKfPKiPfiiiiiiiiiiiiiiii.kd
    .uniform_work_group_size: 1
    .uses_dynamic_stack: false
    .vgpr_count:     38
    .vgpr_spill_count: 0
    .wavefront_size: 64
  - .args:
      - .actual_access:  read_only
        .address_space:  global
        .offset:         0
        .size:           8
        .value_kind:     global_buffer
      - .actual_access:  read_only
        .address_space:  global
        .offset:         8
        .size:           8
        .value_kind:     global_buffer
      - .actual_access:  read_only
        .address_space:  global
        .offset:         16
        .size:           8
        .value_kind:     global_buffer
      - .actual_access:  read_only
        .address_space:  global
        .offset:         24
        .size:           8
        .value_kind:     global_buffer
      - .offset:         32
        .size:           4
        .value_kind:     by_value
      - .offset:         36
        .size:           4
        .value_kind:     by_value
      - .offset:         40
        .size:           4
        .value_kind:     by_value
      - .offset:         44
        .size:           4
        .value_kind:     by_value
      - .offset:         48
        .size:           4
        .value_kind:     by_value
      - .offset:         52
        .size:           4
        .value_kind:     by_value
      - .offset:         56
        .size:           4
        .value_kind:     by_value
      - .offset:         60
        .size:           4
        .value_kind:     by_value
      - .offset:         64
        .size:           4
        .value_kind:     by_value
      - .offset:         68
        .size:           4
        .value_kind:     by_value
      - .offset:         72
        .size:           4
        .value_kind:     by_value
      - .offset:         76
        .size:           4
        .value_kind:     by_value
      - .offset:         80
        .size:           4
        .value_kind:     by_value
      - .offset:         84
        .size:           4
        .value_kind:     by_value
      - .offset:         88
        .size:           4
        .value_kind:     by_value
      - .offset:         92
        .size:           4
        .value_kind:     by_value
      - .offset:         96
        .size:           4
        .value_kind:     hidden_block_count_x
      - .offset:         100
        .size:           4
        .value_kind:     hidden_block_count_y
      - .offset:         104
        .size:           4
        .value_kind:     hidden_block_count_z
      - .offset:         108
        .size:           2
        .value_kind:     hidden_group_size_x
      - .offset:         110
        .size:           2
        .value_kind:     hidden_group_size_y
      - .offset:         112
        .size:           2
        .value_kind:     hidden_group_size_z
      - .offset:         114
        .size:           2
        .value_kind:     hidden_remainder_x
      - .offset:         116
        .size:           2
        .value_kind:     hidden_remainder_y
      - .offset:         118
        .size:           2
        .value_kind:     hidden_remainder_z
      - .offset:         136
        .size:           8
        .value_kind:     hidden_global_offset_x
      - .offset:         144
        .size:           8
        .value_kind:     hidden_global_offset_y
      - .offset:         152
        .size:           8
        .value_kind:     hidden_global_offset_z
      - .offset:         160
        .size:           2
        .value_kind:     hidden_grid_dims
      - .offset:         176
        .size:           8
        .value_kind:     hidden_hostcall_buffer
    .group_segment_fixed_size: 0
    .kernarg_segment_align: 8
    .kernarg_segment_size: 352
    .language:       OpenCL C
    .language_version:
      - 2
      - 0
    .max_flat_workgroup_size: 320
    .name:           _ZL9mul_mat_fI7__half2Li64ELi3ELi5ELb0EEvPKT_PKfPKiPfiiiiiiiiiiiiiiii
    .private_segment_fixed_size: 16
    .sgpr_count:     38
    .sgpr_spill_count: 0
    .symbol:         _ZL9mul_mat_fI7__half2Li64ELi3ELi5ELb0EEvPKT_PKfPKiPfiiiiiiiiiiiiiiii.kd
    .uniform_work_group_size: 1
    .uses_dynamic_stack: false
    .vgpr_count:     38
    .vgpr_spill_count: 0
    .wavefront_size: 64
  - .args:
      - .actual_access:  read_only
        .address_space:  global
        .offset:         0
        .size:           8
        .value_kind:     global_buffer
      - .actual_access:  read_only
        .address_space:  global
        .offset:         8
        .size:           8
        .value_kind:     global_buffer
      - .actual_access:  read_only
        .address_space:  global
        .offset:         16
        .size:           8
        .value_kind:     global_buffer
      - .actual_access:  read_only
        .address_space:  global
        .offset:         24
        .size:           8
        .value_kind:     global_buffer
      - .actual_access:  read_only
        .address_space:  global
        .offset:         32
        .size:           8
        .value_kind:     global_buffer
      - .actual_access:  read_only
        .address_space:  global
        .offset:         40
        .size:           8
        .value_kind:     global_buffer
      - .offset:         48
        .size:           4
        .value_kind:     by_value
      - .offset:         52
        .size:           4
        .value_kind:     by_value
      - .offset:         56
        .size:           4
        .value_kind:     by_value
      - .offset:         60
        .size:           4
        .value_kind:     by_value
      - .offset:         64
        .size:           4
        .value_kind:     by_value
      - .offset:         68
        .size:           4
        .value_kind:     by_value
      - .offset:         72
        .size:           4
        .value_kind:     by_value
      - .offset:         76
        .size:           4
        .value_kind:     by_value
      - .offset:         80
        .size:           4
        .value_kind:     by_value
      - .offset:         84
        .size:           4
        .value_kind:     by_value
      - .offset:         88
        .size:           4
        .value_kind:     by_value
      - .offset:         92
        .size:           4
        .value_kind:     by_value
      - .offset:         96
        .size:           4
        .value_kind:     by_value
      - .offset:         100
        .size:           4
        .value_kind:     by_value
      - .offset:         104
        .size:           12
        .value_kind:     by_value
      - .offset:         116
        .size:           12
        .value_kind:     by_value
      - .offset:         128
        .size:           4
        .value_kind:     hidden_block_count_x
      - .offset:         132
        .size:           4
        .value_kind:     hidden_block_count_y
      - .offset:         136
        .size:           4
        .value_kind:     hidden_block_count_z
      - .offset:         140
        .size:           2
        .value_kind:     hidden_group_size_x
      - .offset:         142
        .size:           2
        .value_kind:     hidden_group_size_y
      - .offset:         144
        .size:           2
        .value_kind:     hidden_group_size_z
      - .offset:         146
        .size:           2
        .value_kind:     hidden_remainder_x
      - .offset:         148
        .size:           2
        .value_kind:     hidden_remainder_y
      - .offset:         150
        .size:           2
        .value_kind:     hidden_remainder_z
      - .offset:         168
        .size:           8
        .value_kind:     hidden_global_offset_x
      - .offset:         176
        .size:           8
        .value_kind:     hidden_global_offset_y
      - .offset:         184
        .size:           8
        .value_kind:     hidden_global_offset_z
      - .offset:         192
        .size:           2
        .value_kind:     hidden_grid_dims
      - .offset:         208
        .size:           8
        .value_kind:     hidden_hostcall_buffer
    .group_segment_fixed_size: 0
    .kernarg_segment_align: 8
    .kernarg_segment_size: 384
    .language:       OpenCL C
    .language_version:
      - 2
      - 0
    .max_flat_workgroup_size: 384
    .name:           _ZL13mul_mat_f_idsI7__half2Li64ELi3ELi6EEvPKT_PKfPKiS7_S7_Pfiiiiiiiiiiiiii15HIP_vector_typeIjLj3EESA_
    .private_segment_fixed_size: 16
    .sgpr_count:     38
    .sgpr_spill_count: 0
    .symbol:         _ZL13mul_mat_f_idsI7__half2Li64ELi3ELi6EEvPKT_PKfPKiS7_S7_Pfiiiiiiiiiiiiii15HIP_vector_typeIjLj3EESA_.kd
    .uniform_work_group_size: 1
    .uses_dynamic_stack: false
    .vgpr_count:     38
    .vgpr_spill_count: 0
    .wavefront_size: 64
  - .args:
      - .actual_access:  read_only
        .address_space:  global
        .offset:         0
        .size:           8
        .value_kind:     global_buffer
      - .actual_access:  read_only
        .address_space:  global
        .offset:         8
        .size:           8
        .value_kind:     global_buffer
      - .actual_access:  read_only
        .address_space:  global
        .offset:         16
        .size:           8
        .value_kind:     global_buffer
      - .actual_access:  read_only
        .address_space:  global
        .offset:         24
        .size:           8
        .value_kind:     global_buffer
      - .offset:         32
        .size:           4
        .value_kind:     by_value
      - .offset:         36
        .size:           4
        .value_kind:     by_value
      - .offset:         40
        .size:           4
        .value_kind:     by_value
      - .offset:         44
        .size:           4
        .value_kind:     by_value
      - .offset:         48
        .size:           4
        .value_kind:     by_value
      - .offset:         52
        .size:           4
        .value_kind:     by_value
      - .offset:         56
        .size:           4
        .value_kind:     by_value
      - .offset:         60
        .size:           4
        .value_kind:     by_value
      - .offset:         64
        .size:           4
        .value_kind:     by_value
      - .offset:         68
        .size:           4
        .value_kind:     by_value
      - .offset:         72
        .size:           4
        .value_kind:     by_value
      - .offset:         76
        .size:           4
        .value_kind:     by_value
      - .offset:         80
        .size:           4
        .value_kind:     by_value
      - .offset:         84
        .size:           4
        .value_kind:     by_value
      - .offset:         88
        .size:           4
        .value_kind:     by_value
      - .offset:         92
        .size:           4
        .value_kind:     by_value
      - .offset:         96
        .size:           4
        .value_kind:     hidden_block_count_x
      - .offset:         100
        .size:           4
        .value_kind:     hidden_block_count_y
      - .offset:         104
        .size:           4
        .value_kind:     hidden_block_count_z
      - .offset:         108
        .size:           2
        .value_kind:     hidden_group_size_x
      - .offset:         110
        .size:           2
        .value_kind:     hidden_group_size_y
      - .offset:         112
        .size:           2
        .value_kind:     hidden_group_size_z
      - .offset:         114
        .size:           2
        .value_kind:     hidden_remainder_x
      - .offset:         116
        .size:           2
        .value_kind:     hidden_remainder_y
      - .offset:         118
        .size:           2
        .value_kind:     hidden_remainder_z
      - .offset:         136
        .size:           8
        .value_kind:     hidden_global_offset_x
      - .offset:         144
        .size:           8
        .value_kind:     hidden_global_offset_y
      - .offset:         152
        .size:           8
        .value_kind:     hidden_global_offset_z
      - .offset:         160
        .size:           2
        .value_kind:     hidden_grid_dims
      - .offset:         176
        .size:           8
        .value_kind:     hidden_hostcall_buffer
    .group_segment_fixed_size: 0
    .kernarg_segment_align: 8
    .kernarg_segment_size: 352
    .language:       OpenCL C
    .language_version:
      - 2
      - 0
    .max_flat_workgroup_size: 384
    .name:           _ZL9mul_mat_fI7__half2Li64ELi3ELi6ELb1EEvPKT_PKfPKiPfiiiiiiiiiiiiiiii
    .private_segment_fixed_size: 16
    .sgpr_count:     38
    .sgpr_spill_count: 0
    .symbol:         _ZL9mul_mat_fI7__half2Li64ELi3ELi6ELb1EEvPKT_PKfPKiPfiiiiiiiiiiiiiiii.kd
    .uniform_work_group_size: 1
    .uses_dynamic_stack: false
    .vgpr_count:     38
    .vgpr_spill_count: 0
    .wavefront_size: 64
  - .args:
      - .actual_access:  read_only
        .address_space:  global
        .offset:         0
        .size:           8
        .value_kind:     global_buffer
      - .actual_access:  read_only
        .address_space:  global
        .offset:         8
        .size:           8
        .value_kind:     global_buffer
      - .actual_access:  read_only
        .address_space:  global
        .offset:         16
        .size:           8
        .value_kind:     global_buffer
      - .actual_access:  read_only
        .address_space:  global
        .offset:         24
        .size:           8
        .value_kind:     global_buffer
      - .offset:         32
        .size:           4
        .value_kind:     by_value
      - .offset:         36
        .size:           4
        .value_kind:     by_value
      - .offset:         40
        .size:           4
        .value_kind:     by_value
      - .offset:         44
        .size:           4
        .value_kind:     by_value
      - .offset:         48
        .size:           4
        .value_kind:     by_value
      - .offset:         52
        .size:           4
        .value_kind:     by_value
      - .offset:         56
        .size:           4
        .value_kind:     by_value
      - .offset:         60
        .size:           4
        .value_kind:     by_value
      - .offset:         64
        .size:           4
        .value_kind:     by_value
      - .offset:         68
        .size:           4
        .value_kind:     by_value
      - .offset:         72
        .size:           4
        .value_kind:     by_value
      - .offset:         76
        .size:           4
        .value_kind:     by_value
      - .offset:         80
        .size:           4
        .value_kind:     by_value
      - .offset:         84
        .size:           4
        .value_kind:     by_value
      - .offset:         88
        .size:           4
        .value_kind:     by_value
      - .offset:         92
        .size:           4
        .value_kind:     by_value
      - .offset:         96
        .size:           4
        .value_kind:     hidden_block_count_x
      - .offset:         100
        .size:           4
        .value_kind:     hidden_block_count_y
      - .offset:         104
        .size:           4
        .value_kind:     hidden_block_count_z
      - .offset:         108
        .size:           2
        .value_kind:     hidden_group_size_x
      - .offset:         110
        .size:           2
        .value_kind:     hidden_group_size_y
      - .offset:         112
        .size:           2
        .value_kind:     hidden_group_size_z
      - .offset:         114
        .size:           2
        .value_kind:     hidden_remainder_x
      - .offset:         116
        .size:           2
        .value_kind:     hidden_remainder_y
      - .offset:         118
        .size:           2
        .value_kind:     hidden_remainder_z
      - .offset:         136
        .size:           8
        .value_kind:     hidden_global_offset_x
      - .offset:         144
        .size:           8
        .value_kind:     hidden_global_offset_y
      - .offset:         152
        .size:           8
        .value_kind:     hidden_global_offset_z
      - .offset:         160
        .size:           2
        .value_kind:     hidden_grid_dims
      - .offset:         176
        .size:           8
        .value_kind:     hidden_hostcall_buffer
    .group_segment_fixed_size: 0
    .kernarg_segment_align: 8
    .kernarg_segment_size: 352
    .language:       OpenCL C
    .language_version:
      - 2
      - 0
    .max_flat_workgroup_size: 384
    .name:           _ZL9mul_mat_fI7__half2Li64ELi3ELi6ELb0EEvPKT_PKfPKiPfiiiiiiiiiiiiiiii
    .private_segment_fixed_size: 16
    .sgpr_count:     38
    .sgpr_spill_count: 0
    .symbol:         _ZL9mul_mat_fI7__half2Li64ELi3ELi6ELb0EEvPKT_PKfPKiPfiiiiiiiiiiiiiiii.kd
    .uniform_work_group_size: 1
    .uses_dynamic_stack: false
    .vgpr_count:     38
    .vgpr_spill_count: 0
    .wavefront_size: 64
  - .args:
      - .actual_access:  read_only
        .address_space:  global
        .offset:         0
        .size:           8
        .value_kind:     global_buffer
      - .actual_access:  read_only
        .address_space:  global
        .offset:         8
        .size:           8
        .value_kind:     global_buffer
      - .actual_access:  read_only
        .address_space:  global
        .offset:         16
        .size:           8
        .value_kind:     global_buffer
      - .actual_access:  read_only
        .address_space:  global
        .offset:         24
        .size:           8
        .value_kind:     global_buffer
      - .actual_access:  read_only
        .address_space:  global
        .offset:         32
        .size:           8
        .value_kind:     global_buffer
      - .actual_access:  read_only
        .address_space:  global
        .offset:         40
        .size:           8
        .value_kind:     global_buffer
      - .offset:         48
        .size:           4
        .value_kind:     by_value
      - .offset:         52
        .size:           4
        .value_kind:     by_value
      - .offset:         56
        .size:           4
        .value_kind:     by_value
      - .offset:         60
        .size:           4
        .value_kind:     by_value
      - .offset:         64
        .size:           4
        .value_kind:     by_value
      - .offset:         68
        .size:           4
        .value_kind:     by_value
      - .offset:         72
        .size:           4
        .value_kind:     by_value
      - .offset:         76
        .size:           4
        .value_kind:     by_value
      - .offset:         80
        .size:           4
        .value_kind:     by_value
      - .offset:         84
        .size:           4
        .value_kind:     by_value
      - .offset:         88
        .size:           4
        .value_kind:     by_value
      - .offset:         92
        .size:           4
        .value_kind:     by_value
      - .offset:         96
        .size:           4
        .value_kind:     by_value
      - .offset:         100
        .size:           4
        .value_kind:     by_value
      - .offset:         104
        .size:           12
        .value_kind:     by_value
      - .offset:         116
        .size:           12
        .value_kind:     by_value
      - .offset:         128
        .size:           4
        .value_kind:     hidden_block_count_x
      - .offset:         132
        .size:           4
        .value_kind:     hidden_block_count_y
      - .offset:         136
        .size:           4
        .value_kind:     hidden_block_count_z
      - .offset:         140
        .size:           2
        .value_kind:     hidden_group_size_x
      - .offset:         142
        .size:           2
        .value_kind:     hidden_group_size_y
      - .offset:         144
        .size:           2
        .value_kind:     hidden_group_size_z
      - .offset:         146
        .size:           2
        .value_kind:     hidden_remainder_x
      - .offset:         148
        .size:           2
        .value_kind:     hidden_remainder_y
      - .offset:         150
        .size:           2
        .value_kind:     hidden_remainder_z
      - .offset:         168
        .size:           8
        .value_kind:     hidden_global_offset_x
      - .offset:         176
        .size:           8
        .value_kind:     hidden_global_offset_y
      - .offset:         184
        .size:           8
        .value_kind:     hidden_global_offset_z
      - .offset:         192
        .size:           2
        .value_kind:     hidden_grid_dims
      - .offset:         208
        .size:           8
        .value_kind:     hidden_hostcall_buffer
    .group_segment_fixed_size: 0
    .kernarg_segment_align: 8
    .kernarg_segment_size: 384
    .language:       OpenCL C
    .language_version:
      - 2
      - 0
    .max_flat_workgroup_size: 448
    .name:           _ZL13mul_mat_f_idsI7__half2Li64ELi3ELi7EEvPKT_PKfPKiS7_S7_Pfiiiiiiiiiiiiii15HIP_vector_typeIjLj3EESA_
    .private_segment_fixed_size: 16
    .sgpr_count:     38
    .sgpr_spill_count: 0
    .symbol:         _ZL13mul_mat_f_idsI7__half2Li64ELi3ELi7EEvPKT_PKfPKiS7_S7_Pfiiiiiiiiiiiiii15HIP_vector_typeIjLj3EESA_.kd
    .uniform_work_group_size: 1
    .uses_dynamic_stack: false
    .vgpr_count:     38
    .vgpr_spill_count: 0
    .wavefront_size: 64
  - .args:
      - .actual_access:  read_only
        .address_space:  global
        .offset:         0
        .size:           8
        .value_kind:     global_buffer
      - .actual_access:  read_only
        .address_space:  global
        .offset:         8
        .size:           8
        .value_kind:     global_buffer
      - .actual_access:  read_only
        .address_space:  global
        .offset:         16
        .size:           8
        .value_kind:     global_buffer
      - .actual_access:  read_only
        .address_space:  global
        .offset:         24
        .size:           8
        .value_kind:     global_buffer
      - .offset:         32
        .size:           4
        .value_kind:     by_value
      - .offset:         36
        .size:           4
        .value_kind:     by_value
      - .offset:         40
        .size:           4
        .value_kind:     by_value
      - .offset:         44
        .size:           4
        .value_kind:     by_value
      - .offset:         48
        .size:           4
        .value_kind:     by_value
      - .offset:         52
        .size:           4
        .value_kind:     by_value
      - .offset:         56
        .size:           4
        .value_kind:     by_value
      - .offset:         60
        .size:           4
        .value_kind:     by_value
      - .offset:         64
        .size:           4
        .value_kind:     by_value
      - .offset:         68
        .size:           4
        .value_kind:     by_value
      - .offset:         72
        .size:           4
        .value_kind:     by_value
      - .offset:         76
        .size:           4
        .value_kind:     by_value
      - .offset:         80
        .size:           4
        .value_kind:     by_value
      - .offset:         84
        .size:           4
        .value_kind:     by_value
      - .offset:         88
        .size:           4
        .value_kind:     by_value
      - .offset:         92
        .size:           4
        .value_kind:     by_value
      - .offset:         96
        .size:           4
        .value_kind:     hidden_block_count_x
      - .offset:         100
        .size:           4
        .value_kind:     hidden_block_count_y
      - .offset:         104
        .size:           4
        .value_kind:     hidden_block_count_z
      - .offset:         108
        .size:           2
        .value_kind:     hidden_group_size_x
      - .offset:         110
        .size:           2
        .value_kind:     hidden_group_size_y
      - .offset:         112
        .size:           2
        .value_kind:     hidden_group_size_z
      - .offset:         114
        .size:           2
        .value_kind:     hidden_remainder_x
      - .offset:         116
        .size:           2
        .value_kind:     hidden_remainder_y
      - .offset:         118
        .size:           2
        .value_kind:     hidden_remainder_z
      - .offset:         136
        .size:           8
        .value_kind:     hidden_global_offset_x
      - .offset:         144
        .size:           8
        .value_kind:     hidden_global_offset_y
      - .offset:         152
        .size:           8
        .value_kind:     hidden_global_offset_z
      - .offset:         160
        .size:           2
        .value_kind:     hidden_grid_dims
      - .offset:         176
        .size:           8
        .value_kind:     hidden_hostcall_buffer
    .group_segment_fixed_size: 0
    .kernarg_segment_align: 8
    .kernarg_segment_size: 352
    .language:       OpenCL C
    .language_version:
      - 2
      - 0
    .max_flat_workgroup_size: 448
    .name:           _ZL9mul_mat_fI7__half2Li64ELi3ELi7ELb1EEvPKT_PKfPKiPfiiiiiiiiiiiiiiii
    .private_segment_fixed_size: 16
    .sgpr_count:     38
    .sgpr_spill_count: 0
    .symbol:         _ZL9mul_mat_fI7__half2Li64ELi3ELi7ELb1EEvPKT_PKfPKiPfiiiiiiiiiiiiiiii.kd
    .uniform_work_group_size: 1
    .uses_dynamic_stack: false
    .vgpr_count:     38
    .vgpr_spill_count: 0
    .wavefront_size: 64
  - .args:
      - .actual_access:  read_only
        .address_space:  global
        .offset:         0
        .size:           8
        .value_kind:     global_buffer
      - .actual_access:  read_only
        .address_space:  global
        .offset:         8
        .size:           8
        .value_kind:     global_buffer
      - .actual_access:  read_only
        .address_space:  global
        .offset:         16
        .size:           8
        .value_kind:     global_buffer
      - .actual_access:  read_only
        .address_space:  global
        .offset:         24
        .size:           8
        .value_kind:     global_buffer
      - .offset:         32
        .size:           4
        .value_kind:     by_value
      - .offset:         36
        .size:           4
        .value_kind:     by_value
      - .offset:         40
        .size:           4
        .value_kind:     by_value
      - .offset:         44
        .size:           4
        .value_kind:     by_value
      - .offset:         48
        .size:           4
        .value_kind:     by_value
      - .offset:         52
        .size:           4
        .value_kind:     by_value
      - .offset:         56
        .size:           4
        .value_kind:     by_value
      - .offset:         60
        .size:           4
        .value_kind:     by_value
      - .offset:         64
        .size:           4
        .value_kind:     by_value
      - .offset:         68
        .size:           4
        .value_kind:     by_value
      - .offset:         72
        .size:           4
        .value_kind:     by_value
      - .offset:         76
        .size:           4
        .value_kind:     by_value
      - .offset:         80
        .size:           4
        .value_kind:     by_value
      - .offset:         84
        .size:           4
        .value_kind:     by_value
      - .offset:         88
        .size:           4
        .value_kind:     by_value
      - .offset:         92
        .size:           4
        .value_kind:     by_value
      - .offset:         96
        .size:           4
        .value_kind:     hidden_block_count_x
      - .offset:         100
        .size:           4
        .value_kind:     hidden_block_count_y
      - .offset:         104
        .size:           4
        .value_kind:     hidden_block_count_z
      - .offset:         108
        .size:           2
        .value_kind:     hidden_group_size_x
      - .offset:         110
        .size:           2
        .value_kind:     hidden_group_size_y
      - .offset:         112
        .size:           2
        .value_kind:     hidden_group_size_z
      - .offset:         114
        .size:           2
        .value_kind:     hidden_remainder_x
      - .offset:         116
        .size:           2
        .value_kind:     hidden_remainder_y
      - .offset:         118
        .size:           2
        .value_kind:     hidden_remainder_z
      - .offset:         136
        .size:           8
        .value_kind:     hidden_global_offset_x
      - .offset:         144
        .size:           8
        .value_kind:     hidden_global_offset_y
      - .offset:         152
        .size:           8
        .value_kind:     hidden_global_offset_z
      - .offset:         160
        .size:           2
        .value_kind:     hidden_grid_dims
      - .offset:         176
        .size:           8
        .value_kind:     hidden_hostcall_buffer
    .group_segment_fixed_size: 0
    .kernarg_segment_align: 8
    .kernarg_segment_size: 352
    .language:       OpenCL C
    .language_version:
      - 2
      - 0
    .max_flat_workgroup_size: 448
    .name:           _ZL9mul_mat_fI7__half2Li64ELi3ELi7ELb0EEvPKT_PKfPKiPfiiiiiiiiiiiiiiii
    .private_segment_fixed_size: 16
    .sgpr_count:     38
    .sgpr_spill_count: 0
    .symbol:         _ZL9mul_mat_fI7__half2Li64ELi3ELi7ELb0EEvPKT_PKfPKiPfiiiiiiiiiiiiiiii.kd
    .uniform_work_group_size: 1
    .uses_dynamic_stack: false
    .vgpr_count:     38
    .vgpr_spill_count: 0
    .wavefront_size: 64
  - .args:
      - .actual_access:  read_only
        .address_space:  global
        .offset:         0
        .size:           8
        .value_kind:     global_buffer
      - .actual_access:  read_only
        .address_space:  global
        .offset:         8
        .size:           8
        .value_kind:     global_buffer
      - .actual_access:  read_only
        .address_space:  global
        .offset:         16
        .size:           8
        .value_kind:     global_buffer
      - .actual_access:  read_only
        .address_space:  global
        .offset:         24
        .size:           8
        .value_kind:     global_buffer
      - .actual_access:  read_only
        .address_space:  global
        .offset:         32
        .size:           8
        .value_kind:     global_buffer
      - .actual_access:  read_only
        .address_space:  global
        .offset:         40
        .size:           8
        .value_kind:     global_buffer
      - .offset:         48
        .size:           4
        .value_kind:     by_value
      - .offset:         52
        .size:           4
        .value_kind:     by_value
      - .offset:         56
        .size:           4
        .value_kind:     by_value
      - .offset:         60
        .size:           4
        .value_kind:     by_value
      - .offset:         64
        .size:           4
        .value_kind:     by_value
      - .offset:         68
        .size:           4
        .value_kind:     by_value
      - .offset:         72
        .size:           4
        .value_kind:     by_value
      - .offset:         76
        .size:           4
        .value_kind:     by_value
      - .offset:         80
        .size:           4
        .value_kind:     by_value
      - .offset:         84
        .size:           4
        .value_kind:     by_value
      - .offset:         88
        .size:           4
        .value_kind:     by_value
      - .offset:         92
        .size:           4
        .value_kind:     by_value
      - .offset:         96
        .size:           4
        .value_kind:     by_value
      - .offset:         100
        .size:           4
        .value_kind:     by_value
      - .offset:         104
        .size:           12
        .value_kind:     by_value
      - .offset:         116
        .size:           12
        .value_kind:     by_value
      - .offset:         128
        .size:           4
        .value_kind:     hidden_block_count_x
      - .offset:         132
        .size:           4
        .value_kind:     hidden_block_count_y
      - .offset:         136
        .size:           4
        .value_kind:     hidden_block_count_z
      - .offset:         140
        .size:           2
        .value_kind:     hidden_group_size_x
      - .offset:         142
        .size:           2
        .value_kind:     hidden_group_size_y
      - .offset:         144
        .size:           2
        .value_kind:     hidden_group_size_z
      - .offset:         146
        .size:           2
        .value_kind:     hidden_remainder_x
      - .offset:         148
        .size:           2
        .value_kind:     hidden_remainder_y
      - .offset:         150
        .size:           2
        .value_kind:     hidden_remainder_z
      - .offset:         168
        .size:           8
        .value_kind:     hidden_global_offset_x
      - .offset:         176
        .size:           8
        .value_kind:     hidden_global_offset_y
      - .offset:         184
        .size:           8
        .value_kind:     hidden_global_offset_z
      - .offset:         192
        .size:           2
        .value_kind:     hidden_grid_dims
      - .offset:         208
        .size:           8
        .value_kind:     hidden_hostcall_buffer
    .group_segment_fixed_size: 0
    .kernarg_segment_align: 8
    .kernarg_segment_size: 384
    .language:       OpenCL C
    .language_version:
      - 2
      - 0
    .max_flat_workgroup_size: 512
    .name:           _ZL13mul_mat_f_idsI7__half2Li64ELi3ELi8EEvPKT_PKfPKiS7_S7_Pfiiiiiiiiiiiiii15HIP_vector_typeIjLj3EESA_
    .private_segment_fixed_size: 16
    .sgpr_count:     38
    .sgpr_spill_count: 0
    .symbol:         _ZL13mul_mat_f_idsI7__half2Li64ELi3ELi8EEvPKT_PKfPKiS7_S7_Pfiiiiiiiiiiiiii15HIP_vector_typeIjLj3EESA_.kd
    .uniform_work_group_size: 1
    .uses_dynamic_stack: false
    .vgpr_count:     38
    .vgpr_spill_count: 0
    .wavefront_size: 64
  - .args:
      - .actual_access:  read_only
        .address_space:  global
        .offset:         0
        .size:           8
        .value_kind:     global_buffer
      - .actual_access:  read_only
        .address_space:  global
        .offset:         8
        .size:           8
        .value_kind:     global_buffer
      - .actual_access:  read_only
        .address_space:  global
        .offset:         16
        .size:           8
        .value_kind:     global_buffer
      - .actual_access:  read_only
        .address_space:  global
        .offset:         24
        .size:           8
        .value_kind:     global_buffer
      - .offset:         32
        .size:           4
        .value_kind:     by_value
      - .offset:         36
        .size:           4
        .value_kind:     by_value
      - .offset:         40
        .size:           4
        .value_kind:     by_value
      - .offset:         44
        .size:           4
        .value_kind:     by_value
      - .offset:         48
        .size:           4
        .value_kind:     by_value
      - .offset:         52
        .size:           4
        .value_kind:     by_value
      - .offset:         56
        .size:           4
        .value_kind:     by_value
      - .offset:         60
        .size:           4
        .value_kind:     by_value
      - .offset:         64
        .size:           4
        .value_kind:     by_value
      - .offset:         68
        .size:           4
        .value_kind:     by_value
      - .offset:         72
        .size:           4
        .value_kind:     by_value
      - .offset:         76
        .size:           4
        .value_kind:     by_value
      - .offset:         80
        .size:           4
        .value_kind:     by_value
      - .offset:         84
        .size:           4
        .value_kind:     by_value
      - .offset:         88
        .size:           4
        .value_kind:     by_value
      - .offset:         92
        .size:           4
        .value_kind:     by_value
      - .offset:         96
        .size:           4
        .value_kind:     hidden_block_count_x
      - .offset:         100
        .size:           4
        .value_kind:     hidden_block_count_y
      - .offset:         104
        .size:           4
        .value_kind:     hidden_block_count_z
      - .offset:         108
        .size:           2
        .value_kind:     hidden_group_size_x
      - .offset:         110
        .size:           2
        .value_kind:     hidden_group_size_y
      - .offset:         112
        .size:           2
        .value_kind:     hidden_group_size_z
      - .offset:         114
        .size:           2
        .value_kind:     hidden_remainder_x
      - .offset:         116
        .size:           2
        .value_kind:     hidden_remainder_y
      - .offset:         118
        .size:           2
        .value_kind:     hidden_remainder_z
      - .offset:         136
        .size:           8
        .value_kind:     hidden_global_offset_x
      - .offset:         144
        .size:           8
        .value_kind:     hidden_global_offset_y
      - .offset:         152
        .size:           8
        .value_kind:     hidden_global_offset_z
      - .offset:         160
        .size:           2
        .value_kind:     hidden_grid_dims
      - .offset:         176
        .size:           8
        .value_kind:     hidden_hostcall_buffer
    .group_segment_fixed_size: 0
    .kernarg_segment_align: 8
    .kernarg_segment_size: 352
    .language:       OpenCL C
    .language_version:
      - 2
      - 0
    .max_flat_workgroup_size: 512
    .name:           _ZL9mul_mat_fI7__half2Li64ELi3ELi8ELb1EEvPKT_PKfPKiPfiiiiiiiiiiiiiiii
    .private_segment_fixed_size: 16
    .sgpr_count:     38
    .sgpr_spill_count: 0
    .symbol:         _ZL9mul_mat_fI7__half2Li64ELi3ELi8ELb1EEvPKT_PKfPKiPfiiiiiiiiiiiiiiii.kd
    .uniform_work_group_size: 1
    .uses_dynamic_stack: false
    .vgpr_count:     38
    .vgpr_spill_count: 0
    .wavefront_size: 64
  - .args:
      - .actual_access:  read_only
        .address_space:  global
        .offset:         0
        .size:           8
        .value_kind:     global_buffer
      - .actual_access:  read_only
        .address_space:  global
        .offset:         8
        .size:           8
        .value_kind:     global_buffer
      - .actual_access:  read_only
        .address_space:  global
        .offset:         16
        .size:           8
        .value_kind:     global_buffer
      - .actual_access:  read_only
        .address_space:  global
        .offset:         24
        .size:           8
        .value_kind:     global_buffer
      - .offset:         32
        .size:           4
        .value_kind:     by_value
      - .offset:         36
        .size:           4
        .value_kind:     by_value
      - .offset:         40
        .size:           4
        .value_kind:     by_value
      - .offset:         44
        .size:           4
        .value_kind:     by_value
      - .offset:         48
        .size:           4
        .value_kind:     by_value
      - .offset:         52
        .size:           4
        .value_kind:     by_value
      - .offset:         56
        .size:           4
        .value_kind:     by_value
      - .offset:         60
        .size:           4
        .value_kind:     by_value
      - .offset:         64
        .size:           4
        .value_kind:     by_value
      - .offset:         68
        .size:           4
        .value_kind:     by_value
      - .offset:         72
        .size:           4
        .value_kind:     by_value
      - .offset:         76
        .size:           4
        .value_kind:     by_value
      - .offset:         80
        .size:           4
        .value_kind:     by_value
      - .offset:         84
        .size:           4
        .value_kind:     by_value
      - .offset:         88
        .size:           4
        .value_kind:     by_value
      - .offset:         92
        .size:           4
        .value_kind:     by_value
      - .offset:         96
        .size:           4
        .value_kind:     hidden_block_count_x
      - .offset:         100
        .size:           4
        .value_kind:     hidden_block_count_y
      - .offset:         104
        .size:           4
        .value_kind:     hidden_block_count_z
      - .offset:         108
        .size:           2
        .value_kind:     hidden_group_size_x
      - .offset:         110
        .size:           2
        .value_kind:     hidden_group_size_y
      - .offset:         112
        .size:           2
        .value_kind:     hidden_group_size_z
      - .offset:         114
        .size:           2
        .value_kind:     hidden_remainder_x
      - .offset:         116
        .size:           2
        .value_kind:     hidden_remainder_y
      - .offset:         118
        .size:           2
        .value_kind:     hidden_remainder_z
      - .offset:         136
        .size:           8
        .value_kind:     hidden_global_offset_x
      - .offset:         144
        .size:           8
        .value_kind:     hidden_global_offset_y
      - .offset:         152
        .size:           8
        .value_kind:     hidden_global_offset_z
      - .offset:         160
        .size:           2
        .value_kind:     hidden_grid_dims
      - .offset:         176
        .size:           8
        .value_kind:     hidden_hostcall_buffer
    .group_segment_fixed_size: 0
    .kernarg_segment_align: 8
    .kernarg_segment_size: 352
    .language:       OpenCL C
    .language_version:
      - 2
      - 0
    .max_flat_workgroup_size: 512
    .name:           _ZL9mul_mat_fI7__half2Li64ELi3ELi8ELb0EEvPKT_PKfPKiPfiiiiiiiiiiiiiiii
    .private_segment_fixed_size: 16
    .sgpr_count:     38
    .sgpr_spill_count: 0
    .symbol:         _ZL9mul_mat_fI7__half2Li64ELi3ELi8ELb0EEvPKT_PKfPKiPfiiiiiiiiiiiiiiii.kd
    .uniform_work_group_size: 1
    .uses_dynamic_stack: false
    .vgpr_count:     38
    .vgpr_spill_count: 0
    .wavefront_size: 64
  - .args:
      - .actual_access:  read_only
        .address_space:  global
        .offset:         0
        .size:           8
        .value_kind:     global_buffer
      - .actual_access:  read_only
        .address_space:  global
        .offset:         8
        .size:           8
        .value_kind:     global_buffer
      - .actual_access:  read_only
        .address_space:  global
        .offset:         16
        .size:           8
        .value_kind:     global_buffer
      - .actual_access:  read_only
        .address_space:  global
        .offset:         24
        .size:           8
        .value_kind:     global_buffer
      - .actual_access:  read_only
        .address_space:  global
        .offset:         32
        .size:           8
        .value_kind:     global_buffer
      - .actual_access:  read_only
        .address_space:  global
        .offset:         40
        .size:           8
        .value_kind:     global_buffer
      - .offset:         48
        .size:           4
        .value_kind:     by_value
      - .offset:         52
        .size:           4
        .value_kind:     by_value
      - .offset:         56
        .size:           4
        .value_kind:     by_value
      - .offset:         60
        .size:           4
        .value_kind:     by_value
      - .offset:         64
        .size:           4
        .value_kind:     by_value
      - .offset:         68
        .size:           4
        .value_kind:     by_value
      - .offset:         72
        .size:           4
        .value_kind:     by_value
      - .offset:         76
        .size:           4
        .value_kind:     by_value
      - .offset:         80
        .size:           4
        .value_kind:     by_value
      - .offset:         84
        .size:           4
        .value_kind:     by_value
      - .offset:         88
        .size:           4
        .value_kind:     by_value
      - .offset:         92
        .size:           4
        .value_kind:     by_value
      - .offset:         96
        .size:           4
        .value_kind:     by_value
      - .offset:         100
        .size:           4
        .value_kind:     by_value
      - .offset:         104
        .size:           12
        .value_kind:     by_value
      - .offset:         116
        .size:           12
        .value_kind:     by_value
      - .offset:         128
        .size:           4
        .value_kind:     hidden_block_count_x
      - .offset:         132
        .size:           4
        .value_kind:     hidden_block_count_y
      - .offset:         136
        .size:           4
        .value_kind:     hidden_block_count_z
      - .offset:         140
        .size:           2
        .value_kind:     hidden_group_size_x
      - .offset:         142
        .size:           2
        .value_kind:     hidden_group_size_y
      - .offset:         144
        .size:           2
        .value_kind:     hidden_group_size_z
      - .offset:         146
        .size:           2
        .value_kind:     hidden_remainder_x
      - .offset:         148
        .size:           2
        .value_kind:     hidden_remainder_y
      - .offset:         150
        .size:           2
        .value_kind:     hidden_remainder_z
      - .offset:         168
        .size:           8
        .value_kind:     hidden_global_offset_x
      - .offset:         176
        .size:           8
        .value_kind:     hidden_global_offset_y
      - .offset:         184
        .size:           8
        .value_kind:     hidden_global_offset_z
      - .offset:         192
        .size:           2
        .value_kind:     hidden_grid_dims
      - .offset:         208
        .size:           8
        .value_kind:     hidden_hostcall_buffer
    .group_segment_fixed_size: 0
    .kernarg_segment_align: 8
    .kernarg_segment_size: 384
    .language:       OpenCL C
    .language_version:
      - 2
      - 0
    .max_flat_workgroup_size: 64
    .name:           _ZL13mul_mat_f_idsI15__hip_bfloat162Li64ELi3ELi1EEvPKT_PKfPKiS7_S7_Pfiiiiiiiiiiiiii15HIP_vector_typeIjLj3EESA_
    .private_segment_fixed_size: 16
    .sgpr_count:     38
    .sgpr_spill_count: 0
    .symbol:         _ZL13mul_mat_f_idsI15__hip_bfloat162Li64ELi3ELi1EEvPKT_PKfPKiS7_S7_Pfiiiiiiiiiiiiii15HIP_vector_typeIjLj3EESA_.kd
    .uniform_work_group_size: 1
    .uses_dynamic_stack: false
    .vgpr_count:     38
    .vgpr_spill_count: 0
    .wavefront_size: 64
  - .args:
      - .actual_access:  read_only
        .address_space:  global
        .offset:         0
        .size:           8
        .value_kind:     global_buffer
      - .actual_access:  read_only
        .address_space:  global
        .offset:         8
        .size:           8
        .value_kind:     global_buffer
      - .actual_access:  read_only
        .address_space:  global
        .offset:         16
        .size:           8
        .value_kind:     global_buffer
      - .actual_access:  read_only
        .address_space:  global
        .offset:         24
        .size:           8
        .value_kind:     global_buffer
      - .offset:         32
        .size:           4
        .value_kind:     by_value
      - .offset:         36
        .size:           4
        .value_kind:     by_value
      - .offset:         40
        .size:           4
        .value_kind:     by_value
      - .offset:         44
        .size:           4
        .value_kind:     by_value
      - .offset:         48
        .size:           4
        .value_kind:     by_value
      - .offset:         52
        .size:           4
        .value_kind:     by_value
      - .offset:         56
        .size:           4
        .value_kind:     by_value
      - .offset:         60
        .size:           4
        .value_kind:     by_value
      - .offset:         64
        .size:           4
        .value_kind:     by_value
      - .offset:         68
        .size:           4
        .value_kind:     by_value
      - .offset:         72
        .size:           4
        .value_kind:     by_value
      - .offset:         76
        .size:           4
        .value_kind:     by_value
      - .offset:         80
        .size:           4
        .value_kind:     by_value
      - .offset:         84
        .size:           4
        .value_kind:     by_value
      - .offset:         88
        .size:           4
        .value_kind:     by_value
      - .offset:         92
        .size:           4
        .value_kind:     by_value
      - .offset:         96
        .size:           4
        .value_kind:     hidden_block_count_x
      - .offset:         100
        .size:           4
        .value_kind:     hidden_block_count_y
      - .offset:         104
        .size:           4
        .value_kind:     hidden_block_count_z
      - .offset:         108
        .size:           2
        .value_kind:     hidden_group_size_x
      - .offset:         110
        .size:           2
        .value_kind:     hidden_group_size_y
      - .offset:         112
        .size:           2
        .value_kind:     hidden_group_size_z
      - .offset:         114
        .size:           2
        .value_kind:     hidden_remainder_x
      - .offset:         116
        .size:           2
        .value_kind:     hidden_remainder_y
      - .offset:         118
        .size:           2
        .value_kind:     hidden_remainder_z
      - .offset:         136
        .size:           8
        .value_kind:     hidden_global_offset_x
      - .offset:         144
        .size:           8
        .value_kind:     hidden_global_offset_y
      - .offset:         152
        .size:           8
        .value_kind:     hidden_global_offset_z
      - .offset:         160
        .size:           2
        .value_kind:     hidden_grid_dims
      - .offset:         176
        .size:           8
        .value_kind:     hidden_hostcall_buffer
    .group_segment_fixed_size: 0
    .kernarg_segment_align: 8
    .kernarg_segment_size: 352
    .language:       OpenCL C
    .language_version:
      - 2
      - 0
    .max_flat_workgroup_size: 64
    .name:           _ZL9mul_mat_fI15__hip_bfloat162Li64ELi3ELi1ELb1EEvPKT_PKfPKiPfiiiiiiiiiiiiiiii
    .private_segment_fixed_size: 16
    .sgpr_count:     38
    .sgpr_spill_count: 0
    .symbol:         _ZL9mul_mat_fI15__hip_bfloat162Li64ELi3ELi1ELb1EEvPKT_PKfPKiPfiiiiiiiiiiiiiiii.kd
    .uniform_work_group_size: 1
    .uses_dynamic_stack: false
    .vgpr_count:     38
    .vgpr_spill_count: 0
    .wavefront_size: 64
  - .args:
      - .actual_access:  read_only
        .address_space:  global
        .offset:         0
        .size:           8
        .value_kind:     global_buffer
      - .actual_access:  read_only
        .address_space:  global
        .offset:         8
        .size:           8
        .value_kind:     global_buffer
      - .actual_access:  read_only
        .address_space:  global
        .offset:         16
        .size:           8
        .value_kind:     global_buffer
      - .actual_access:  read_only
        .address_space:  global
        .offset:         24
        .size:           8
        .value_kind:     global_buffer
      - .offset:         32
        .size:           4
        .value_kind:     by_value
      - .offset:         36
        .size:           4
        .value_kind:     by_value
      - .offset:         40
        .size:           4
        .value_kind:     by_value
      - .offset:         44
        .size:           4
        .value_kind:     by_value
      - .offset:         48
        .size:           4
        .value_kind:     by_value
      - .offset:         52
        .size:           4
        .value_kind:     by_value
      - .offset:         56
        .size:           4
        .value_kind:     by_value
      - .offset:         60
        .size:           4
        .value_kind:     by_value
      - .offset:         64
        .size:           4
        .value_kind:     by_value
      - .offset:         68
        .size:           4
        .value_kind:     by_value
      - .offset:         72
        .size:           4
        .value_kind:     by_value
      - .offset:         76
        .size:           4
        .value_kind:     by_value
      - .offset:         80
        .size:           4
        .value_kind:     by_value
      - .offset:         84
        .size:           4
        .value_kind:     by_value
      - .offset:         88
        .size:           4
        .value_kind:     by_value
      - .offset:         92
        .size:           4
        .value_kind:     by_value
      - .offset:         96
        .size:           4
        .value_kind:     hidden_block_count_x
      - .offset:         100
        .size:           4
        .value_kind:     hidden_block_count_y
      - .offset:         104
        .size:           4
        .value_kind:     hidden_block_count_z
      - .offset:         108
        .size:           2
        .value_kind:     hidden_group_size_x
      - .offset:         110
        .size:           2
        .value_kind:     hidden_group_size_y
      - .offset:         112
        .size:           2
        .value_kind:     hidden_group_size_z
      - .offset:         114
        .size:           2
        .value_kind:     hidden_remainder_x
      - .offset:         116
        .size:           2
        .value_kind:     hidden_remainder_y
      - .offset:         118
        .size:           2
        .value_kind:     hidden_remainder_z
      - .offset:         136
        .size:           8
        .value_kind:     hidden_global_offset_x
      - .offset:         144
        .size:           8
        .value_kind:     hidden_global_offset_y
      - .offset:         152
        .size:           8
        .value_kind:     hidden_global_offset_z
      - .offset:         160
        .size:           2
        .value_kind:     hidden_grid_dims
      - .offset:         176
        .size:           8
        .value_kind:     hidden_hostcall_buffer
    .group_segment_fixed_size: 0
    .kernarg_segment_align: 8
    .kernarg_segment_size: 352
    .language:       OpenCL C
    .language_version:
      - 2
      - 0
    .max_flat_workgroup_size: 64
    .name:           _ZL9mul_mat_fI15__hip_bfloat162Li64ELi3ELi1ELb0EEvPKT_PKfPKiPfiiiiiiiiiiiiiiii
    .private_segment_fixed_size: 16
    .sgpr_count:     38
    .sgpr_spill_count: 0
    .symbol:         _ZL9mul_mat_fI15__hip_bfloat162Li64ELi3ELi1ELb0EEvPKT_PKfPKiPfiiiiiiiiiiiiiiii.kd
    .uniform_work_group_size: 1
    .uses_dynamic_stack: false
    .vgpr_count:     38
    .vgpr_spill_count: 0
    .wavefront_size: 64
  - .args:
      - .actual_access:  read_only
        .address_space:  global
        .offset:         0
        .size:           8
        .value_kind:     global_buffer
      - .actual_access:  read_only
        .address_space:  global
        .offset:         8
        .size:           8
        .value_kind:     global_buffer
      - .actual_access:  read_only
        .address_space:  global
        .offset:         16
        .size:           8
        .value_kind:     global_buffer
      - .actual_access:  read_only
        .address_space:  global
        .offset:         24
        .size:           8
        .value_kind:     global_buffer
      - .actual_access:  read_only
        .address_space:  global
        .offset:         32
        .size:           8
        .value_kind:     global_buffer
      - .actual_access:  read_only
        .address_space:  global
        .offset:         40
        .size:           8
        .value_kind:     global_buffer
      - .offset:         48
        .size:           4
        .value_kind:     by_value
      - .offset:         52
        .size:           4
        .value_kind:     by_value
      - .offset:         56
        .size:           4
        .value_kind:     by_value
      - .offset:         60
        .size:           4
        .value_kind:     by_value
      - .offset:         64
        .size:           4
        .value_kind:     by_value
      - .offset:         68
        .size:           4
        .value_kind:     by_value
      - .offset:         72
        .size:           4
        .value_kind:     by_value
      - .offset:         76
        .size:           4
        .value_kind:     by_value
      - .offset:         80
        .size:           4
        .value_kind:     by_value
      - .offset:         84
        .size:           4
        .value_kind:     by_value
      - .offset:         88
        .size:           4
        .value_kind:     by_value
      - .offset:         92
        .size:           4
        .value_kind:     by_value
      - .offset:         96
        .size:           4
        .value_kind:     by_value
      - .offset:         100
        .size:           4
        .value_kind:     by_value
      - .offset:         104
        .size:           12
        .value_kind:     by_value
      - .offset:         116
        .size:           12
        .value_kind:     by_value
      - .offset:         128
        .size:           4
        .value_kind:     hidden_block_count_x
      - .offset:         132
        .size:           4
        .value_kind:     hidden_block_count_y
      - .offset:         136
        .size:           4
        .value_kind:     hidden_block_count_z
      - .offset:         140
        .size:           2
        .value_kind:     hidden_group_size_x
      - .offset:         142
        .size:           2
        .value_kind:     hidden_group_size_y
      - .offset:         144
        .size:           2
        .value_kind:     hidden_group_size_z
      - .offset:         146
        .size:           2
        .value_kind:     hidden_remainder_x
      - .offset:         148
        .size:           2
        .value_kind:     hidden_remainder_y
      - .offset:         150
        .size:           2
        .value_kind:     hidden_remainder_z
      - .offset:         168
        .size:           8
        .value_kind:     hidden_global_offset_x
      - .offset:         176
        .size:           8
        .value_kind:     hidden_global_offset_y
      - .offset:         184
        .size:           8
        .value_kind:     hidden_global_offset_z
      - .offset:         192
        .size:           2
        .value_kind:     hidden_grid_dims
      - .offset:         208
        .size:           8
        .value_kind:     hidden_hostcall_buffer
    .group_segment_fixed_size: 0
    .kernarg_segment_align: 8
    .kernarg_segment_size: 384
    .language:       OpenCL C
    .language_version:
      - 2
      - 0
    .max_flat_workgroup_size: 128
    .name:           _ZL13mul_mat_f_idsI15__hip_bfloat162Li64ELi3ELi2EEvPKT_PKfPKiS7_S7_Pfiiiiiiiiiiiiii15HIP_vector_typeIjLj3EESA_
    .private_segment_fixed_size: 16
    .sgpr_count:     38
    .sgpr_spill_count: 0
    .symbol:         _ZL13mul_mat_f_idsI15__hip_bfloat162Li64ELi3ELi2EEvPKT_PKfPKiS7_S7_Pfiiiiiiiiiiiiii15HIP_vector_typeIjLj3EESA_.kd
    .uniform_work_group_size: 1
    .uses_dynamic_stack: false
    .vgpr_count:     38
    .vgpr_spill_count: 0
    .wavefront_size: 64
  - .args:
      - .actual_access:  read_only
        .address_space:  global
        .offset:         0
        .size:           8
        .value_kind:     global_buffer
      - .actual_access:  read_only
        .address_space:  global
        .offset:         8
        .size:           8
        .value_kind:     global_buffer
      - .actual_access:  read_only
        .address_space:  global
        .offset:         16
        .size:           8
        .value_kind:     global_buffer
      - .actual_access:  read_only
        .address_space:  global
        .offset:         24
        .size:           8
        .value_kind:     global_buffer
      - .offset:         32
        .size:           4
        .value_kind:     by_value
      - .offset:         36
        .size:           4
        .value_kind:     by_value
      - .offset:         40
        .size:           4
        .value_kind:     by_value
      - .offset:         44
        .size:           4
        .value_kind:     by_value
      - .offset:         48
        .size:           4
        .value_kind:     by_value
      - .offset:         52
        .size:           4
        .value_kind:     by_value
      - .offset:         56
        .size:           4
        .value_kind:     by_value
      - .offset:         60
        .size:           4
        .value_kind:     by_value
      - .offset:         64
        .size:           4
        .value_kind:     by_value
      - .offset:         68
        .size:           4
        .value_kind:     by_value
      - .offset:         72
        .size:           4
        .value_kind:     by_value
      - .offset:         76
        .size:           4
        .value_kind:     by_value
      - .offset:         80
        .size:           4
        .value_kind:     by_value
      - .offset:         84
        .size:           4
        .value_kind:     by_value
      - .offset:         88
        .size:           4
        .value_kind:     by_value
      - .offset:         92
        .size:           4
        .value_kind:     by_value
      - .offset:         96
        .size:           4
        .value_kind:     hidden_block_count_x
      - .offset:         100
        .size:           4
        .value_kind:     hidden_block_count_y
      - .offset:         104
        .size:           4
        .value_kind:     hidden_block_count_z
      - .offset:         108
        .size:           2
        .value_kind:     hidden_group_size_x
      - .offset:         110
        .size:           2
        .value_kind:     hidden_group_size_y
      - .offset:         112
        .size:           2
        .value_kind:     hidden_group_size_z
      - .offset:         114
        .size:           2
        .value_kind:     hidden_remainder_x
      - .offset:         116
        .size:           2
        .value_kind:     hidden_remainder_y
      - .offset:         118
        .size:           2
        .value_kind:     hidden_remainder_z
      - .offset:         136
        .size:           8
        .value_kind:     hidden_global_offset_x
      - .offset:         144
        .size:           8
        .value_kind:     hidden_global_offset_y
      - .offset:         152
        .size:           8
        .value_kind:     hidden_global_offset_z
      - .offset:         160
        .size:           2
        .value_kind:     hidden_grid_dims
      - .offset:         176
        .size:           8
        .value_kind:     hidden_hostcall_buffer
    .group_segment_fixed_size: 0
    .kernarg_segment_align: 8
    .kernarg_segment_size: 352
    .language:       OpenCL C
    .language_version:
      - 2
      - 0
    .max_flat_workgroup_size: 128
    .name:           _ZL9mul_mat_fI15__hip_bfloat162Li64ELi3ELi2ELb1EEvPKT_PKfPKiPfiiiiiiiiiiiiiiii
    .private_segment_fixed_size: 16
    .sgpr_count:     38
    .sgpr_spill_count: 0
    .symbol:         _ZL9mul_mat_fI15__hip_bfloat162Li64ELi3ELi2ELb1EEvPKT_PKfPKiPfiiiiiiiiiiiiiiii.kd
    .uniform_work_group_size: 1
    .uses_dynamic_stack: false
    .vgpr_count:     38
    .vgpr_spill_count: 0
    .wavefront_size: 64
  - .args:
      - .actual_access:  read_only
        .address_space:  global
        .offset:         0
        .size:           8
        .value_kind:     global_buffer
      - .actual_access:  read_only
        .address_space:  global
        .offset:         8
        .size:           8
        .value_kind:     global_buffer
      - .actual_access:  read_only
        .address_space:  global
        .offset:         16
        .size:           8
        .value_kind:     global_buffer
      - .actual_access:  read_only
        .address_space:  global
        .offset:         24
        .size:           8
        .value_kind:     global_buffer
      - .offset:         32
        .size:           4
        .value_kind:     by_value
      - .offset:         36
        .size:           4
        .value_kind:     by_value
      - .offset:         40
        .size:           4
        .value_kind:     by_value
      - .offset:         44
        .size:           4
        .value_kind:     by_value
      - .offset:         48
        .size:           4
        .value_kind:     by_value
      - .offset:         52
        .size:           4
        .value_kind:     by_value
      - .offset:         56
        .size:           4
        .value_kind:     by_value
      - .offset:         60
        .size:           4
        .value_kind:     by_value
      - .offset:         64
        .size:           4
        .value_kind:     by_value
      - .offset:         68
        .size:           4
        .value_kind:     by_value
      - .offset:         72
        .size:           4
        .value_kind:     by_value
      - .offset:         76
        .size:           4
        .value_kind:     by_value
      - .offset:         80
        .size:           4
        .value_kind:     by_value
      - .offset:         84
        .size:           4
        .value_kind:     by_value
      - .offset:         88
        .size:           4
        .value_kind:     by_value
      - .offset:         92
        .size:           4
        .value_kind:     by_value
      - .offset:         96
        .size:           4
        .value_kind:     hidden_block_count_x
      - .offset:         100
        .size:           4
        .value_kind:     hidden_block_count_y
      - .offset:         104
        .size:           4
        .value_kind:     hidden_block_count_z
      - .offset:         108
        .size:           2
        .value_kind:     hidden_group_size_x
      - .offset:         110
        .size:           2
        .value_kind:     hidden_group_size_y
      - .offset:         112
        .size:           2
        .value_kind:     hidden_group_size_z
      - .offset:         114
        .size:           2
        .value_kind:     hidden_remainder_x
      - .offset:         116
        .size:           2
        .value_kind:     hidden_remainder_y
      - .offset:         118
        .size:           2
        .value_kind:     hidden_remainder_z
      - .offset:         136
        .size:           8
        .value_kind:     hidden_global_offset_x
      - .offset:         144
        .size:           8
        .value_kind:     hidden_global_offset_y
      - .offset:         152
        .size:           8
        .value_kind:     hidden_global_offset_z
      - .offset:         160
        .size:           2
        .value_kind:     hidden_grid_dims
      - .offset:         176
        .size:           8
        .value_kind:     hidden_hostcall_buffer
    .group_segment_fixed_size: 0
    .kernarg_segment_align: 8
    .kernarg_segment_size: 352
    .language:       OpenCL C
    .language_version:
      - 2
      - 0
    .max_flat_workgroup_size: 128
    .name:           _ZL9mul_mat_fI15__hip_bfloat162Li64ELi3ELi2ELb0EEvPKT_PKfPKiPfiiiiiiiiiiiiiiii
    .private_segment_fixed_size: 16
    .sgpr_count:     38
    .sgpr_spill_count: 0
    .symbol:         _ZL9mul_mat_fI15__hip_bfloat162Li64ELi3ELi2ELb0EEvPKT_PKfPKiPfiiiiiiiiiiiiiiii.kd
    .uniform_work_group_size: 1
    .uses_dynamic_stack: false
    .vgpr_count:     38
    .vgpr_spill_count: 0
    .wavefront_size: 64
  - .args:
      - .actual_access:  read_only
        .address_space:  global
        .offset:         0
        .size:           8
        .value_kind:     global_buffer
      - .actual_access:  read_only
        .address_space:  global
        .offset:         8
        .size:           8
        .value_kind:     global_buffer
      - .actual_access:  read_only
        .address_space:  global
        .offset:         16
        .size:           8
        .value_kind:     global_buffer
      - .actual_access:  read_only
        .address_space:  global
        .offset:         24
        .size:           8
        .value_kind:     global_buffer
      - .actual_access:  read_only
        .address_space:  global
        .offset:         32
        .size:           8
        .value_kind:     global_buffer
      - .actual_access:  read_only
        .address_space:  global
        .offset:         40
        .size:           8
        .value_kind:     global_buffer
      - .offset:         48
        .size:           4
        .value_kind:     by_value
      - .offset:         52
        .size:           4
        .value_kind:     by_value
      - .offset:         56
        .size:           4
        .value_kind:     by_value
      - .offset:         60
        .size:           4
        .value_kind:     by_value
      - .offset:         64
        .size:           4
        .value_kind:     by_value
      - .offset:         68
        .size:           4
        .value_kind:     by_value
      - .offset:         72
        .size:           4
        .value_kind:     by_value
      - .offset:         76
        .size:           4
        .value_kind:     by_value
      - .offset:         80
        .size:           4
        .value_kind:     by_value
      - .offset:         84
        .size:           4
        .value_kind:     by_value
      - .offset:         88
        .size:           4
        .value_kind:     by_value
      - .offset:         92
        .size:           4
        .value_kind:     by_value
      - .offset:         96
        .size:           4
        .value_kind:     by_value
      - .offset:         100
        .size:           4
        .value_kind:     by_value
      - .offset:         104
        .size:           12
        .value_kind:     by_value
      - .offset:         116
        .size:           12
        .value_kind:     by_value
      - .offset:         128
        .size:           4
        .value_kind:     hidden_block_count_x
      - .offset:         132
        .size:           4
        .value_kind:     hidden_block_count_y
      - .offset:         136
        .size:           4
        .value_kind:     hidden_block_count_z
      - .offset:         140
        .size:           2
        .value_kind:     hidden_group_size_x
      - .offset:         142
        .size:           2
        .value_kind:     hidden_group_size_y
      - .offset:         144
        .size:           2
        .value_kind:     hidden_group_size_z
      - .offset:         146
        .size:           2
        .value_kind:     hidden_remainder_x
      - .offset:         148
        .size:           2
        .value_kind:     hidden_remainder_y
      - .offset:         150
        .size:           2
        .value_kind:     hidden_remainder_z
      - .offset:         168
        .size:           8
        .value_kind:     hidden_global_offset_x
      - .offset:         176
        .size:           8
        .value_kind:     hidden_global_offset_y
      - .offset:         184
        .size:           8
        .value_kind:     hidden_global_offset_z
      - .offset:         192
        .size:           2
        .value_kind:     hidden_grid_dims
      - .offset:         208
        .size:           8
        .value_kind:     hidden_hostcall_buffer
    .group_segment_fixed_size: 0
    .kernarg_segment_align: 8
    .kernarg_segment_size: 384
    .language:       OpenCL C
    .language_version:
      - 2
      - 0
    .max_flat_workgroup_size: 192
    .name:           _ZL13mul_mat_f_idsI15__hip_bfloat162Li64ELi3ELi3EEvPKT_PKfPKiS7_S7_Pfiiiiiiiiiiiiii15HIP_vector_typeIjLj3EESA_
    .private_segment_fixed_size: 16
    .sgpr_count:     38
    .sgpr_spill_count: 0
    .symbol:         _ZL13mul_mat_f_idsI15__hip_bfloat162Li64ELi3ELi3EEvPKT_PKfPKiS7_S7_Pfiiiiiiiiiiiiii15HIP_vector_typeIjLj3EESA_.kd
    .uniform_work_group_size: 1
    .uses_dynamic_stack: false
    .vgpr_count:     38
    .vgpr_spill_count: 0
    .wavefront_size: 64
  - .args:
      - .actual_access:  read_only
        .address_space:  global
        .offset:         0
        .size:           8
        .value_kind:     global_buffer
      - .actual_access:  read_only
        .address_space:  global
        .offset:         8
        .size:           8
        .value_kind:     global_buffer
      - .actual_access:  read_only
        .address_space:  global
        .offset:         16
        .size:           8
        .value_kind:     global_buffer
      - .actual_access:  read_only
        .address_space:  global
        .offset:         24
        .size:           8
        .value_kind:     global_buffer
      - .offset:         32
        .size:           4
        .value_kind:     by_value
      - .offset:         36
        .size:           4
        .value_kind:     by_value
      - .offset:         40
        .size:           4
        .value_kind:     by_value
      - .offset:         44
        .size:           4
        .value_kind:     by_value
      - .offset:         48
        .size:           4
        .value_kind:     by_value
      - .offset:         52
        .size:           4
        .value_kind:     by_value
      - .offset:         56
        .size:           4
        .value_kind:     by_value
      - .offset:         60
        .size:           4
        .value_kind:     by_value
      - .offset:         64
        .size:           4
        .value_kind:     by_value
      - .offset:         68
        .size:           4
        .value_kind:     by_value
      - .offset:         72
        .size:           4
        .value_kind:     by_value
      - .offset:         76
        .size:           4
        .value_kind:     by_value
      - .offset:         80
        .size:           4
        .value_kind:     by_value
      - .offset:         84
        .size:           4
        .value_kind:     by_value
      - .offset:         88
        .size:           4
        .value_kind:     by_value
      - .offset:         92
        .size:           4
        .value_kind:     by_value
      - .offset:         96
        .size:           4
        .value_kind:     hidden_block_count_x
      - .offset:         100
        .size:           4
        .value_kind:     hidden_block_count_y
      - .offset:         104
        .size:           4
        .value_kind:     hidden_block_count_z
      - .offset:         108
        .size:           2
        .value_kind:     hidden_group_size_x
      - .offset:         110
        .size:           2
        .value_kind:     hidden_group_size_y
      - .offset:         112
        .size:           2
        .value_kind:     hidden_group_size_z
      - .offset:         114
        .size:           2
        .value_kind:     hidden_remainder_x
      - .offset:         116
        .size:           2
        .value_kind:     hidden_remainder_y
      - .offset:         118
        .size:           2
        .value_kind:     hidden_remainder_z
      - .offset:         136
        .size:           8
        .value_kind:     hidden_global_offset_x
      - .offset:         144
        .size:           8
        .value_kind:     hidden_global_offset_y
      - .offset:         152
        .size:           8
        .value_kind:     hidden_global_offset_z
      - .offset:         160
        .size:           2
        .value_kind:     hidden_grid_dims
      - .offset:         176
        .size:           8
        .value_kind:     hidden_hostcall_buffer
    .group_segment_fixed_size: 0
    .kernarg_segment_align: 8
    .kernarg_segment_size: 352
    .language:       OpenCL C
    .language_version:
      - 2
      - 0
    .max_flat_workgroup_size: 192
    .name:           _ZL9mul_mat_fI15__hip_bfloat162Li64ELi3ELi3ELb1EEvPKT_PKfPKiPfiiiiiiiiiiiiiiii
    .private_segment_fixed_size: 16
    .sgpr_count:     38
    .sgpr_spill_count: 0
    .symbol:         _ZL9mul_mat_fI15__hip_bfloat162Li64ELi3ELi3ELb1EEvPKT_PKfPKiPfiiiiiiiiiiiiiiii.kd
    .uniform_work_group_size: 1
    .uses_dynamic_stack: false
    .vgpr_count:     38
    .vgpr_spill_count: 0
    .wavefront_size: 64
  - .args:
      - .actual_access:  read_only
        .address_space:  global
        .offset:         0
        .size:           8
        .value_kind:     global_buffer
      - .actual_access:  read_only
        .address_space:  global
        .offset:         8
        .size:           8
        .value_kind:     global_buffer
      - .actual_access:  read_only
        .address_space:  global
        .offset:         16
        .size:           8
        .value_kind:     global_buffer
      - .actual_access:  read_only
        .address_space:  global
        .offset:         24
        .size:           8
        .value_kind:     global_buffer
      - .offset:         32
        .size:           4
        .value_kind:     by_value
      - .offset:         36
        .size:           4
        .value_kind:     by_value
      - .offset:         40
        .size:           4
        .value_kind:     by_value
      - .offset:         44
        .size:           4
        .value_kind:     by_value
      - .offset:         48
        .size:           4
        .value_kind:     by_value
      - .offset:         52
        .size:           4
        .value_kind:     by_value
      - .offset:         56
        .size:           4
        .value_kind:     by_value
      - .offset:         60
        .size:           4
        .value_kind:     by_value
      - .offset:         64
        .size:           4
        .value_kind:     by_value
      - .offset:         68
        .size:           4
        .value_kind:     by_value
      - .offset:         72
        .size:           4
        .value_kind:     by_value
      - .offset:         76
        .size:           4
        .value_kind:     by_value
      - .offset:         80
        .size:           4
        .value_kind:     by_value
      - .offset:         84
        .size:           4
        .value_kind:     by_value
      - .offset:         88
        .size:           4
        .value_kind:     by_value
      - .offset:         92
        .size:           4
        .value_kind:     by_value
      - .offset:         96
        .size:           4
        .value_kind:     hidden_block_count_x
      - .offset:         100
        .size:           4
        .value_kind:     hidden_block_count_y
      - .offset:         104
        .size:           4
        .value_kind:     hidden_block_count_z
      - .offset:         108
        .size:           2
        .value_kind:     hidden_group_size_x
      - .offset:         110
        .size:           2
        .value_kind:     hidden_group_size_y
      - .offset:         112
        .size:           2
        .value_kind:     hidden_group_size_z
      - .offset:         114
        .size:           2
        .value_kind:     hidden_remainder_x
      - .offset:         116
        .size:           2
        .value_kind:     hidden_remainder_y
      - .offset:         118
        .size:           2
        .value_kind:     hidden_remainder_z
      - .offset:         136
        .size:           8
        .value_kind:     hidden_global_offset_x
      - .offset:         144
        .size:           8
        .value_kind:     hidden_global_offset_y
      - .offset:         152
        .size:           8
        .value_kind:     hidden_global_offset_z
      - .offset:         160
        .size:           2
        .value_kind:     hidden_grid_dims
      - .offset:         176
        .size:           8
        .value_kind:     hidden_hostcall_buffer
    .group_segment_fixed_size: 0
    .kernarg_segment_align: 8
    .kernarg_segment_size: 352
    .language:       OpenCL C
    .language_version:
      - 2
      - 0
    .max_flat_workgroup_size: 192
    .name:           _ZL9mul_mat_fI15__hip_bfloat162Li64ELi3ELi3ELb0EEvPKT_PKfPKiPfiiiiiiiiiiiiiiii
    .private_segment_fixed_size: 16
    .sgpr_count:     38
    .sgpr_spill_count: 0
    .symbol:         _ZL9mul_mat_fI15__hip_bfloat162Li64ELi3ELi3ELb0EEvPKT_PKfPKiPfiiiiiiiiiiiiiiii.kd
    .uniform_work_group_size: 1
    .uses_dynamic_stack: false
    .vgpr_count:     38
    .vgpr_spill_count: 0
    .wavefront_size: 64
  - .args:
      - .actual_access:  read_only
        .address_space:  global
        .offset:         0
        .size:           8
        .value_kind:     global_buffer
      - .actual_access:  read_only
        .address_space:  global
        .offset:         8
        .size:           8
        .value_kind:     global_buffer
      - .actual_access:  read_only
        .address_space:  global
        .offset:         16
        .size:           8
        .value_kind:     global_buffer
      - .actual_access:  read_only
        .address_space:  global
        .offset:         24
        .size:           8
        .value_kind:     global_buffer
      - .actual_access:  read_only
        .address_space:  global
        .offset:         32
        .size:           8
        .value_kind:     global_buffer
      - .actual_access:  read_only
        .address_space:  global
        .offset:         40
        .size:           8
        .value_kind:     global_buffer
      - .offset:         48
        .size:           4
        .value_kind:     by_value
      - .offset:         52
        .size:           4
        .value_kind:     by_value
      - .offset:         56
        .size:           4
        .value_kind:     by_value
      - .offset:         60
        .size:           4
        .value_kind:     by_value
      - .offset:         64
        .size:           4
        .value_kind:     by_value
      - .offset:         68
        .size:           4
        .value_kind:     by_value
      - .offset:         72
        .size:           4
        .value_kind:     by_value
      - .offset:         76
        .size:           4
        .value_kind:     by_value
      - .offset:         80
        .size:           4
        .value_kind:     by_value
      - .offset:         84
        .size:           4
        .value_kind:     by_value
      - .offset:         88
        .size:           4
        .value_kind:     by_value
      - .offset:         92
        .size:           4
        .value_kind:     by_value
      - .offset:         96
        .size:           4
        .value_kind:     by_value
      - .offset:         100
        .size:           4
        .value_kind:     by_value
      - .offset:         104
        .size:           12
        .value_kind:     by_value
      - .offset:         116
        .size:           12
        .value_kind:     by_value
      - .offset:         128
        .size:           4
        .value_kind:     hidden_block_count_x
      - .offset:         132
        .size:           4
        .value_kind:     hidden_block_count_y
      - .offset:         136
        .size:           4
        .value_kind:     hidden_block_count_z
      - .offset:         140
        .size:           2
        .value_kind:     hidden_group_size_x
      - .offset:         142
        .size:           2
        .value_kind:     hidden_group_size_y
      - .offset:         144
        .size:           2
        .value_kind:     hidden_group_size_z
      - .offset:         146
        .size:           2
        .value_kind:     hidden_remainder_x
      - .offset:         148
        .size:           2
        .value_kind:     hidden_remainder_y
      - .offset:         150
        .size:           2
        .value_kind:     hidden_remainder_z
      - .offset:         168
        .size:           8
        .value_kind:     hidden_global_offset_x
      - .offset:         176
        .size:           8
        .value_kind:     hidden_global_offset_y
      - .offset:         184
        .size:           8
        .value_kind:     hidden_global_offset_z
      - .offset:         192
        .size:           2
        .value_kind:     hidden_grid_dims
      - .offset:         208
        .size:           8
        .value_kind:     hidden_hostcall_buffer
    .group_segment_fixed_size: 0
    .kernarg_segment_align: 8
    .kernarg_segment_size: 384
    .language:       OpenCL C
    .language_version:
      - 2
      - 0
    .max_flat_workgroup_size: 256
    .name:           _ZL13mul_mat_f_idsI15__hip_bfloat162Li64ELi3ELi4EEvPKT_PKfPKiS7_S7_Pfiiiiiiiiiiiiii15HIP_vector_typeIjLj3EESA_
    .private_segment_fixed_size: 16
    .sgpr_count:     38
    .sgpr_spill_count: 0
    .symbol:         _ZL13mul_mat_f_idsI15__hip_bfloat162Li64ELi3ELi4EEvPKT_PKfPKiS7_S7_Pfiiiiiiiiiiiiii15HIP_vector_typeIjLj3EESA_.kd
    .uniform_work_group_size: 1
    .uses_dynamic_stack: false
    .vgpr_count:     38
    .vgpr_spill_count: 0
    .wavefront_size: 64
  - .args:
      - .actual_access:  read_only
        .address_space:  global
        .offset:         0
        .size:           8
        .value_kind:     global_buffer
      - .actual_access:  read_only
        .address_space:  global
        .offset:         8
        .size:           8
        .value_kind:     global_buffer
      - .actual_access:  read_only
        .address_space:  global
        .offset:         16
        .size:           8
        .value_kind:     global_buffer
      - .actual_access:  read_only
        .address_space:  global
        .offset:         24
        .size:           8
        .value_kind:     global_buffer
      - .offset:         32
        .size:           4
        .value_kind:     by_value
      - .offset:         36
        .size:           4
        .value_kind:     by_value
      - .offset:         40
        .size:           4
        .value_kind:     by_value
      - .offset:         44
        .size:           4
        .value_kind:     by_value
      - .offset:         48
        .size:           4
        .value_kind:     by_value
      - .offset:         52
        .size:           4
        .value_kind:     by_value
      - .offset:         56
        .size:           4
        .value_kind:     by_value
      - .offset:         60
        .size:           4
        .value_kind:     by_value
      - .offset:         64
        .size:           4
        .value_kind:     by_value
      - .offset:         68
        .size:           4
        .value_kind:     by_value
      - .offset:         72
        .size:           4
        .value_kind:     by_value
      - .offset:         76
        .size:           4
        .value_kind:     by_value
      - .offset:         80
        .size:           4
        .value_kind:     by_value
      - .offset:         84
        .size:           4
        .value_kind:     by_value
      - .offset:         88
        .size:           4
        .value_kind:     by_value
      - .offset:         92
        .size:           4
        .value_kind:     by_value
      - .offset:         96
        .size:           4
        .value_kind:     hidden_block_count_x
      - .offset:         100
        .size:           4
        .value_kind:     hidden_block_count_y
      - .offset:         104
        .size:           4
        .value_kind:     hidden_block_count_z
      - .offset:         108
        .size:           2
        .value_kind:     hidden_group_size_x
      - .offset:         110
        .size:           2
        .value_kind:     hidden_group_size_y
      - .offset:         112
        .size:           2
        .value_kind:     hidden_group_size_z
      - .offset:         114
        .size:           2
        .value_kind:     hidden_remainder_x
      - .offset:         116
        .size:           2
        .value_kind:     hidden_remainder_y
      - .offset:         118
        .size:           2
        .value_kind:     hidden_remainder_z
      - .offset:         136
        .size:           8
        .value_kind:     hidden_global_offset_x
      - .offset:         144
        .size:           8
        .value_kind:     hidden_global_offset_y
      - .offset:         152
        .size:           8
        .value_kind:     hidden_global_offset_z
      - .offset:         160
        .size:           2
        .value_kind:     hidden_grid_dims
      - .offset:         176
        .size:           8
        .value_kind:     hidden_hostcall_buffer
    .group_segment_fixed_size: 0
    .kernarg_segment_align: 8
    .kernarg_segment_size: 352
    .language:       OpenCL C
    .language_version:
      - 2
      - 0
    .max_flat_workgroup_size: 256
    .name:           _ZL9mul_mat_fI15__hip_bfloat162Li64ELi3ELi4ELb1EEvPKT_PKfPKiPfiiiiiiiiiiiiiiii
    .private_segment_fixed_size: 16
    .sgpr_count:     38
    .sgpr_spill_count: 0
    .symbol:         _ZL9mul_mat_fI15__hip_bfloat162Li64ELi3ELi4ELb1EEvPKT_PKfPKiPfiiiiiiiiiiiiiiii.kd
    .uniform_work_group_size: 1
    .uses_dynamic_stack: false
    .vgpr_count:     38
    .vgpr_spill_count: 0
    .wavefront_size: 64
  - .args:
      - .actual_access:  read_only
        .address_space:  global
        .offset:         0
        .size:           8
        .value_kind:     global_buffer
      - .actual_access:  read_only
        .address_space:  global
        .offset:         8
        .size:           8
        .value_kind:     global_buffer
      - .actual_access:  read_only
        .address_space:  global
        .offset:         16
        .size:           8
        .value_kind:     global_buffer
      - .actual_access:  read_only
        .address_space:  global
        .offset:         24
        .size:           8
        .value_kind:     global_buffer
      - .offset:         32
        .size:           4
        .value_kind:     by_value
      - .offset:         36
        .size:           4
        .value_kind:     by_value
      - .offset:         40
        .size:           4
        .value_kind:     by_value
      - .offset:         44
        .size:           4
        .value_kind:     by_value
      - .offset:         48
        .size:           4
        .value_kind:     by_value
      - .offset:         52
        .size:           4
        .value_kind:     by_value
      - .offset:         56
        .size:           4
        .value_kind:     by_value
      - .offset:         60
        .size:           4
        .value_kind:     by_value
      - .offset:         64
        .size:           4
        .value_kind:     by_value
      - .offset:         68
        .size:           4
        .value_kind:     by_value
      - .offset:         72
        .size:           4
        .value_kind:     by_value
      - .offset:         76
        .size:           4
        .value_kind:     by_value
      - .offset:         80
        .size:           4
        .value_kind:     by_value
      - .offset:         84
        .size:           4
        .value_kind:     by_value
      - .offset:         88
        .size:           4
        .value_kind:     by_value
      - .offset:         92
        .size:           4
        .value_kind:     by_value
      - .offset:         96
        .size:           4
        .value_kind:     hidden_block_count_x
      - .offset:         100
        .size:           4
        .value_kind:     hidden_block_count_y
      - .offset:         104
        .size:           4
        .value_kind:     hidden_block_count_z
      - .offset:         108
        .size:           2
        .value_kind:     hidden_group_size_x
      - .offset:         110
        .size:           2
        .value_kind:     hidden_group_size_y
      - .offset:         112
        .size:           2
        .value_kind:     hidden_group_size_z
      - .offset:         114
        .size:           2
        .value_kind:     hidden_remainder_x
      - .offset:         116
        .size:           2
        .value_kind:     hidden_remainder_y
      - .offset:         118
        .size:           2
        .value_kind:     hidden_remainder_z
      - .offset:         136
        .size:           8
        .value_kind:     hidden_global_offset_x
      - .offset:         144
        .size:           8
        .value_kind:     hidden_global_offset_y
      - .offset:         152
        .size:           8
        .value_kind:     hidden_global_offset_z
      - .offset:         160
        .size:           2
        .value_kind:     hidden_grid_dims
      - .offset:         176
        .size:           8
        .value_kind:     hidden_hostcall_buffer
    .group_segment_fixed_size: 0
    .kernarg_segment_align: 8
    .kernarg_segment_size: 352
    .language:       OpenCL C
    .language_version:
      - 2
      - 0
    .max_flat_workgroup_size: 256
    .name:           _ZL9mul_mat_fI15__hip_bfloat162Li64ELi3ELi4ELb0EEvPKT_PKfPKiPfiiiiiiiiiiiiiiii
    .private_segment_fixed_size: 16
    .sgpr_count:     38
    .sgpr_spill_count: 0
    .symbol:         _ZL9mul_mat_fI15__hip_bfloat162Li64ELi3ELi4ELb0EEvPKT_PKfPKiPfiiiiiiiiiiiiiiii.kd
    .uniform_work_group_size: 1
    .uses_dynamic_stack: false
    .vgpr_count:     38
    .vgpr_spill_count: 0
    .wavefront_size: 64
  - .args:
      - .actual_access:  read_only
        .address_space:  global
        .offset:         0
        .size:           8
        .value_kind:     global_buffer
      - .actual_access:  read_only
        .address_space:  global
        .offset:         8
        .size:           8
        .value_kind:     global_buffer
      - .actual_access:  read_only
        .address_space:  global
        .offset:         16
        .size:           8
        .value_kind:     global_buffer
      - .actual_access:  read_only
        .address_space:  global
        .offset:         24
        .size:           8
        .value_kind:     global_buffer
      - .actual_access:  read_only
        .address_space:  global
        .offset:         32
        .size:           8
        .value_kind:     global_buffer
      - .actual_access:  read_only
        .address_space:  global
        .offset:         40
        .size:           8
        .value_kind:     global_buffer
      - .offset:         48
        .size:           4
        .value_kind:     by_value
      - .offset:         52
        .size:           4
        .value_kind:     by_value
      - .offset:         56
        .size:           4
        .value_kind:     by_value
      - .offset:         60
        .size:           4
        .value_kind:     by_value
      - .offset:         64
        .size:           4
        .value_kind:     by_value
      - .offset:         68
        .size:           4
        .value_kind:     by_value
      - .offset:         72
        .size:           4
        .value_kind:     by_value
      - .offset:         76
        .size:           4
        .value_kind:     by_value
      - .offset:         80
        .size:           4
        .value_kind:     by_value
      - .offset:         84
        .size:           4
        .value_kind:     by_value
      - .offset:         88
        .size:           4
        .value_kind:     by_value
      - .offset:         92
        .size:           4
        .value_kind:     by_value
      - .offset:         96
        .size:           4
        .value_kind:     by_value
      - .offset:         100
        .size:           4
        .value_kind:     by_value
      - .offset:         104
        .size:           12
        .value_kind:     by_value
      - .offset:         116
        .size:           12
        .value_kind:     by_value
      - .offset:         128
        .size:           4
        .value_kind:     hidden_block_count_x
      - .offset:         132
        .size:           4
        .value_kind:     hidden_block_count_y
      - .offset:         136
        .size:           4
        .value_kind:     hidden_block_count_z
      - .offset:         140
        .size:           2
        .value_kind:     hidden_group_size_x
      - .offset:         142
        .size:           2
        .value_kind:     hidden_group_size_y
      - .offset:         144
        .size:           2
        .value_kind:     hidden_group_size_z
      - .offset:         146
        .size:           2
        .value_kind:     hidden_remainder_x
      - .offset:         148
        .size:           2
        .value_kind:     hidden_remainder_y
      - .offset:         150
        .size:           2
        .value_kind:     hidden_remainder_z
      - .offset:         168
        .size:           8
        .value_kind:     hidden_global_offset_x
      - .offset:         176
        .size:           8
        .value_kind:     hidden_global_offset_y
      - .offset:         184
        .size:           8
        .value_kind:     hidden_global_offset_z
      - .offset:         192
        .size:           2
        .value_kind:     hidden_grid_dims
      - .offset:         208
        .size:           8
        .value_kind:     hidden_hostcall_buffer
    .group_segment_fixed_size: 0
    .kernarg_segment_align: 8
    .kernarg_segment_size: 384
    .language:       OpenCL C
    .language_version:
      - 2
      - 0
    .max_flat_workgroup_size: 320
    .name:           _ZL13mul_mat_f_idsI15__hip_bfloat162Li64ELi3ELi5EEvPKT_PKfPKiS7_S7_Pfiiiiiiiiiiiiii15HIP_vector_typeIjLj3EESA_
    .private_segment_fixed_size: 16
    .sgpr_count:     38
    .sgpr_spill_count: 0
    .symbol:         _ZL13mul_mat_f_idsI15__hip_bfloat162Li64ELi3ELi5EEvPKT_PKfPKiS7_S7_Pfiiiiiiiiiiiiii15HIP_vector_typeIjLj3EESA_.kd
    .uniform_work_group_size: 1
    .uses_dynamic_stack: false
    .vgpr_count:     38
    .vgpr_spill_count: 0
    .wavefront_size: 64
  - .args:
      - .actual_access:  read_only
        .address_space:  global
        .offset:         0
        .size:           8
        .value_kind:     global_buffer
      - .actual_access:  read_only
        .address_space:  global
        .offset:         8
        .size:           8
        .value_kind:     global_buffer
      - .actual_access:  read_only
        .address_space:  global
        .offset:         16
        .size:           8
        .value_kind:     global_buffer
      - .actual_access:  read_only
        .address_space:  global
        .offset:         24
        .size:           8
        .value_kind:     global_buffer
      - .offset:         32
        .size:           4
        .value_kind:     by_value
      - .offset:         36
        .size:           4
        .value_kind:     by_value
      - .offset:         40
        .size:           4
        .value_kind:     by_value
      - .offset:         44
        .size:           4
        .value_kind:     by_value
      - .offset:         48
        .size:           4
        .value_kind:     by_value
      - .offset:         52
        .size:           4
        .value_kind:     by_value
      - .offset:         56
        .size:           4
        .value_kind:     by_value
      - .offset:         60
        .size:           4
        .value_kind:     by_value
      - .offset:         64
        .size:           4
        .value_kind:     by_value
      - .offset:         68
        .size:           4
        .value_kind:     by_value
      - .offset:         72
        .size:           4
        .value_kind:     by_value
      - .offset:         76
        .size:           4
        .value_kind:     by_value
      - .offset:         80
        .size:           4
        .value_kind:     by_value
      - .offset:         84
        .size:           4
        .value_kind:     by_value
      - .offset:         88
        .size:           4
        .value_kind:     by_value
      - .offset:         92
        .size:           4
        .value_kind:     by_value
      - .offset:         96
        .size:           4
        .value_kind:     hidden_block_count_x
      - .offset:         100
        .size:           4
        .value_kind:     hidden_block_count_y
      - .offset:         104
        .size:           4
        .value_kind:     hidden_block_count_z
      - .offset:         108
        .size:           2
        .value_kind:     hidden_group_size_x
      - .offset:         110
        .size:           2
        .value_kind:     hidden_group_size_y
      - .offset:         112
        .size:           2
        .value_kind:     hidden_group_size_z
      - .offset:         114
        .size:           2
        .value_kind:     hidden_remainder_x
      - .offset:         116
        .size:           2
        .value_kind:     hidden_remainder_y
      - .offset:         118
        .size:           2
        .value_kind:     hidden_remainder_z
      - .offset:         136
        .size:           8
        .value_kind:     hidden_global_offset_x
      - .offset:         144
        .size:           8
        .value_kind:     hidden_global_offset_y
      - .offset:         152
        .size:           8
        .value_kind:     hidden_global_offset_z
      - .offset:         160
        .size:           2
        .value_kind:     hidden_grid_dims
      - .offset:         176
        .size:           8
        .value_kind:     hidden_hostcall_buffer
    .group_segment_fixed_size: 0
    .kernarg_segment_align: 8
    .kernarg_segment_size: 352
    .language:       OpenCL C
    .language_version:
      - 2
      - 0
    .max_flat_workgroup_size: 320
    .name:           _ZL9mul_mat_fI15__hip_bfloat162Li64ELi3ELi5ELb1EEvPKT_PKfPKiPfiiiiiiiiiiiiiiii
    .private_segment_fixed_size: 16
    .sgpr_count:     38
    .sgpr_spill_count: 0
    .symbol:         _ZL9mul_mat_fI15__hip_bfloat162Li64ELi3ELi5ELb1EEvPKT_PKfPKiPfiiiiiiiiiiiiiiii.kd
    .uniform_work_group_size: 1
    .uses_dynamic_stack: false
    .vgpr_count:     38
    .vgpr_spill_count: 0
    .wavefront_size: 64
  - .args:
      - .actual_access:  read_only
        .address_space:  global
        .offset:         0
        .size:           8
        .value_kind:     global_buffer
      - .actual_access:  read_only
        .address_space:  global
        .offset:         8
        .size:           8
        .value_kind:     global_buffer
      - .actual_access:  read_only
        .address_space:  global
        .offset:         16
        .size:           8
        .value_kind:     global_buffer
      - .actual_access:  read_only
        .address_space:  global
        .offset:         24
        .size:           8
        .value_kind:     global_buffer
      - .offset:         32
        .size:           4
        .value_kind:     by_value
      - .offset:         36
        .size:           4
        .value_kind:     by_value
      - .offset:         40
        .size:           4
        .value_kind:     by_value
      - .offset:         44
        .size:           4
        .value_kind:     by_value
      - .offset:         48
        .size:           4
        .value_kind:     by_value
      - .offset:         52
        .size:           4
        .value_kind:     by_value
      - .offset:         56
        .size:           4
        .value_kind:     by_value
      - .offset:         60
        .size:           4
        .value_kind:     by_value
      - .offset:         64
        .size:           4
        .value_kind:     by_value
      - .offset:         68
        .size:           4
        .value_kind:     by_value
      - .offset:         72
        .size:           4
        .value_kind:     by_value
      - .offset:         76
        .size:           4
        .value_kind:     by_value
      - .offset:         80
        .size:           4
        .value_kind:     by_value
      - .offset:         84
        .size:           4
        .value_kind:     by_value
      - .offset:         88
        .size:           4
        .value_kind:     by_value
      - .offset:         92
        .size:           4
        .value_kind:     by_value
      - .offset:         96
        .size:           4
        .value_kind:     hidden_block_count_x
      - .offset:         100
        .size:           4
        .value_kind:     hidden_block_count_y
      - .offset:         104
        .size:           4
        .value_kind:     hidden_block_count_z
      - .offset:         108
        .size:           2
        .value_kind:     hidden_group_size_x
      - .offset:         110
        .size:           2
        .value_kind:     hidden_group_size_y
      - .offset:         112
        .size:           2
        .value_kind:     hidden_group_size_z
      - .offset:         114
        .size:           2
        .value_kind:     hidden_remainder_x
      - .offset:         116
        .size:           2
        .value_kind:     hidden_remainder_y
      - .offset:         118
        .size:           2
        .value_kind:     hidden_remainder_z
      - .offset:         136
        .size:           8
        .value_kind:     hidden_global_offset_x
      - .offset:         144
        .size:           8
        .value_kind:     hidden_global_offset_y
      - .offset:         152
        .size:           8
        .value_kind:     hidden_global_offset_z
      - .offset:         160
        .size:           2
        .value_kind:     hidden_grid_dims
      - .offset:         176
        .size:           8
        .value_kind:     hidden_hostcall_buffer
    .group_segment_fixed_size: 0
    .kernarg_segment_align: 8
    .kernarg_segment_size: 352
    .language:       OpenCL C
    .language_version:
      - 2
      - 0
    .max_flat_workgroup_size: 320
    .name:           _ZL9mul_mat_fI15__hip_bfloat162Li64ELi3ELi5ELb0EEvPKT_PKfPKiPfiiiiiiiiiiiiiiii
    .private_segment_fixed_size: 16
    .sgpr_count:     38
    .sgpr_spill_count: 0
    .symbol:         _ZL9mul_mat_fI15__hip_bfloat162Li64ELi3ELi5ELb0EEvPKT_PKfPKiPfiiiiiiiiiiiiiiii.kd
    .uniform_work_group_size: 1
    .uses_dynamic_stack: false
    .vgpr_count:     38
    .vgpr_spill_count: 0
    .wavefront_size: 64
  - .args:
      - .actual_access:  read_only
        .address_space:  global
        .offset:         0
        .size:           8
        .value_kind:     global_buffer
      - .actual_access:  read_only
        .address_space:  global
        .offset:         8
        .size:           8
        .value_kind:     global_buffer
      - .actual_access:  read_only
        .address_space:  global
        .offset:         16
        .size:           8
        .value_kind:     global_buffer
      - .actual_access:  read_only
        .address_space:  global
        .offset:         24
        .size:           8
        .value_kind:     global_buffer
      - .actual_access:  read_only
        .address_space:  global
        .offset:         32
        .size:           8
        .value_kind:     global_buffer
      - .actual_access:  read_only
        .address_space:  global
        .offset:         40
        .size:           8
        .value_kind:     global_buffer
      - .offset:         48
        .size:           4
        .value_kind:     by_value
      - .offset:         52
        .size:           4
        .value_kind:     by_value
      - .offset:         56
        .size:           4
        .value_kind:     by_value
      - .offset:         60
        .size:           4
        .value_kind:     by_value
      - .offset:         64
        .size:           4
        .value_kind:     by_value
      - .offset:         68
        .size:           4
        .value_kind:     by_value
      - .offset:         72
        .size:           4
        .value_kind:     by_value
      - .offset:         76
        .size:           4
        .value_kind:     by_value
      - .offset:         80
        .size:           4
        .value_kind:     by_value
      - .offset:         84
        .size:           4
        .value_kind:     by_value
      - .offset:         88
        .size:           4
        .value_kind:     by_value
      - .offset:         92
        .size:           4
        .value_kind:     by_value
      - .offset:         96
        .size:           4
        .value_kind:     by_value
      - .offset:         100
        .size:           4
        .value_kind:     by_value
      - .offset:         104
        .size:           12
        .value_kind:     by_value
      - .offset:         116
        .size:           12
        .value_kind:     by_value
      - .offset:         128
        .size:           4
        .value_kind:     hidden_block_count_x
      - .offset:         132
        .size:           4
        .value_kind:     hidden_block_count_y
      - .offset:         136
        .size:           4
        .value_kind:     hidden_block_count_z
      - .offset:         140
        .size:           2
        .value_kind:     hidden_group_size_x
      - .offset:         142
        .size:           2
        .value_kind:     hidden_group_size_y
      - .offset:         144
        .size:           2
        .value_kind:     hidden_group_size_z
      - .offset:         146
        .size:           2
        .value_kind:     hidden_remainder_x
      - .offset:         148
        .size:           2
        .value_kind:     hidden_remainder_y
      - .offset:         150
        .size:           2
        .value_kind:     hidden_remainder_z
      - .offset:         168
        .size:           8
        .value_kind:     hidden_global_offset_x
      - .offset:         176
        .size:           8
        .value_kind:     hidden_global_offset_y
      - .offset:         184
        .size:           8
        .value_kind:     hidden_global_offset_z
      - .offset:         192
        .size:           2
        .value_kind:     hidden_grid_dims
      - .offset:         208
        .size:           8
        .value_kind:     hidden_hostcall_buffer
    .group_segment_fixed_size: 0
    .kernarg_segment_align: 8
    .kernarg_segment_size: 384
    .language:       OpenCL C
    .language_version:
      - 2
      - 0
    .max_flat_workgroup_size: 384
    .name:           _ZL13mul_mat_f_idsI15__hip_bfloat162Li64ELi3ELi6EEvPKT_PKfPKiS7_S7_Pfiiiiiiiiiiiiii15HIP_vector_typeIjLj3EESA_
    .private_segment_fixed_size: 16
    .sgpr_count:     38
    .sgpr_spill_count: 0
    .symbol:         _ZL13mul_mat_f_idsI15__hip_bfloat162Li64ELi3ELi6EEvPKT_PKfPKiS7_S7_Pfiiiiiiiiiiiiii15HIP_vector_typeIjLj3EESA_.kd
    .uniform_work_group_size: 1
    .uses_dynamic_stack: false
    .vgpr_count:     38
    .vgpr_spill_count: 0
    .wavefront_size: 64
  - .args:
      - .actual_access:  read_only
        .address_space:  global
        .offset:         0
        .size:           8
        .value_kind:     global_buffer
      - .actual_access:  read_only
        .address_space:  global
        .offset:         8
        .size:           8
        .value_kind:     global_buffer
      - .actual_access:  read_only
        .address_space:  global
        .offset:         16
        .size:           8
        .value_kind:     global_buffer
      - .actual_access:  read_only
        .address_space:  global
        .offset:         24
        .size:           8
        .value_kind:     global_buffer
      - .offset:         32
        .size:           4
        .value_kind:     by_value
      - .offset:         36
        .size:           4
        .value_kind:     by_value
      - .offset:         40
        .size:           4
        .value_kind:     by_value
      - .offset:         44
        .size:           4
        .value_kind:     by_value
      - .offset:         48
        .size:           4
        .value_kind:     by_value
      - .offset:         52
        .size:           4
        .value_kind:     by_value
      - .offset:         56
        .size:           4
        .value_kind:     by_value
      - .offset:         60
        .size:           4
        .value_kind:     by_value
      - .offset:         64
        .size:           4
        .value_kind:     by_value
      - .offset:         68
        .size:           4
        .value_kind:     by_value
      - .offset:         72
        .size:           4
        .value_kind:     by_value
      - .offset:         76
        .size:           4
        .value_kind:     by_value
      - .offset:         80
        .size:           4
        .value_kind:     by_value
      - .offset:         84
        .size:           4
        .value_kind:     by_value
      - .offset:         88
        .size:           4
        .value_kind:     by_value
      - .offset:         92
        .size:           4
        .value_kind:     by_value
      - .offset:         96
        .size:           4
        .value_kind:     hidden_block_count_x
      - .offset:         100
        .size:           4
        .value_kind:     hidden_block_count_y
      - .offset:         104
        .size:           4
        .value_kind:     hidden_block_count_z
      - .offset:         108
        .size:           2
        .value_kind:     hidden_group_size_x
      - .offset:         110
        .size:           2
        .value_kind:     hidden_group_size_y
      - .offset:         112
        .size:           2
        .value_kind:     hidden_group_size_z
      - .offset:         114
        .size:           2
        .value_kind:     hidden_remainder_x
      - .offset:         116
        .size:           2
        .value_kind:     hidden_remainder_y
      - .offset:         118
        .size:           2
        .value_kind:     hidden_remainder_z
      - .offset:         136
        .size:           8
        .value_kind:     hidden_global_offset_x
      - .offset:         144
        .size:           8
        .value_kind:     hidden_global_offset_y
      - .offset:         152
        .size:           8
        .value_kind:     hidden_global_offset_z
      - .offset:         160
        .size:           2
        .value_kind:     hidden_grid_dims
      - .offset:         176
        .size:           8
        .value_kind:     hidden_hostcall_buffer
    .group_segment_fixed_size: 0
    .kernarg_segment_align: 8
    .kernarg_segment_size: 352
    .language:       OpenCL C
    .language_version:
      - 2
      - 0
    .max_flat_workgroup_size: 384
    .name:           _ZL9mul_mat_fI15__hip_bfloat162Li64ELi3ELi6ELb1EEvPKT_PKfPKiPfiiiiiiiiiiiiiiii
    .private_segment_fixed_size: 16
    .sgpr_count:     38
    .sgpr_spill_count: 0
    .symbol:         _ZL9mul_mat_fI15__hip_bfloat162Li64ELi3ELi6ELb1EEvPKT_PKfPKiPfiiiiiiiiiiiiiiii.kd
    .uniform_work_group_size: 1
    .uses_dynamic_stack: false
    .vgpr_count:     38
    .vgpr_spill_count: 0
    .wavefront_size: 64
  - .args:
      - .actual_access:  read_only
        .address_space:  global
        .offset:         0
        .size:           8
        .value_kind:     global_buffer
      - .actual_access:  read_only
        .address_space:  global
        .offset:         8
        .size:           8
        .value_kind:     global_buffer
      - .actual_access:  read_only
        .address_space:  global
        .offset:         16
        .size:           8
        .value_kind:     global_buffer
      - .actual_access:  read_only
        .address_space:  global
        .offset:         24
        .size:           8
        .value_kind:     global_buffer
      - .offset:         32
        .size:           4
        .value_kind:     by_value
      - .offset:         36
        .size:           4
        .value_kind:     by_value
      - .offset:         40
        .size:           4
        .value_kind:     by_value
      - .offset:         44
        .size:           4
        .value_kind:     by_value
      - .offset:         48
        .size:           4
        .value_kind:     by_value
      - .offset:         52
        .size:           4
        .value_kind:     by_value
      - .offset:         56
        .size:           4
        .value_kind:     by_value
      - .offset:         60
        .size:           4
        .value_kind:     by_value
      - .offset:         64
        .size:           4
        .value_kind:     by_value
      - .offset:         68
        .size:           4
        .value_kind:     by_value
      - .offset:         72
        .size:           4
        .value_kind:     by_value
      - .offset:         76
        .size:           4
        .value_kind:     by_value
      - .offset:         80
        .size:           4
        .value_kind:     by_value
      - .offset:         84
        .size:           4
        .value_kind:     by_value
      - .offset:         88
        .size:           4
        .value_kind:     by_value
      - .offset:         92
        .size:           4
        .value_kind:     by_value
      - .offset:         96
        .size:           4
        .value_kind:     hidden_block_count_x
      - .offset:         100
        .size:           4
        .value_kind:     hidden_block_count_y
      - .offset:         104
        .size:           4
        .value_kind:     hidden_block_count_z
      - .offset:         108
        .size:           2
        .value_kind:     hidden_group_size_x
      - .offset:         110
        .size:           2
        .value_kind:     hidden_group_size_y
      - .offset:         112
        .size:           2
        .value_kind:     hidden_group_size_z
      - .offset:         114
        .size:           2
        .value_kind:     hidden_remainder_x
      - .offset:         116
        .size:           2
        .value_kind:     hidden_remainder_y
      - .offset:         118
        .size:           2
        .value_kind:     hidden_remainder_z
      - .offset:         136
        .size:           8
        .value_kind:     hidden_global_offset_x
      - .offset:         144
        .size:           8
        .value_kind:     hidden_global_offset_y
      - .offset:         152
        .size:           8
        .value_kind:     hidden_global_offset_z
      - .offset:         160
        .size:           2
        .value_kind:     hidden_grid_dims
      - .offset:         176
        .size:           8
        .value_kind:     hidden_hostcall_buffer
    .group_segment_fixed_size: 0
    .kernarg_segment_align: 8
    .kernarg_segment_size: 352
    .language:       OpenCL C
    .language_version:
      - 2
      - 0
    .max_flat_workgroup_size: 384
    .name:           _ZL9mul_mat_fI15__hip_bfloat162Li64ELi3ELi6ELb0EEvPKT_PKfPKiPfiiiiiiiiiiiiiiii
    .private_segment_fixed_size: 16
    .sgpr_count:     38
    .sgpr_spill_count: 0
    .symbol:         _ZL9mul_mat_fI15__hip_bfloat162Li64ELi3ELi6ELb0EEvPKT_PKfPKiPfiiiiiiiiiiiiiiii.kd
    .uniform_work_group_size: 1
    .uses_dynamic_stack: false
    .vgpr_count:     38
    .vgpr_spill_count: 0
    .wavefront_size: 64
  - .args:
      - .actual_access:  read_only
        .address_space:  global
        .offset:         0
        .size:           8
        .value_kind:     global_buffer
      - .actual_access:  read_only
        .address_space:  global
        .offset:         8
        .size:           8
        .value_kind:     global_buffer
      - .actual_access:  read_only
        .address_space:  global
        .offset:         16
        .size:           8
        .value_kind:     global_buffer
      - .actual_access:  read_only
        .address_space:  global
        .offset:         24
        .size:           8
        .value_kind:     global_buffer
      - .actual_access:  read_only
        .address_space:  global
        .offset:         32
        .size:           8
        .value_kind:     global_buffer
      - .actual_access:  read_only
        .address_space:  global
        .offset:         40
        .size:           8
        .value_kind:     global_buffer
      - .offset:         48
        .size:           4
        .value_kind:     by_value
      - .offset:         52
        .size:           4
        .value_kind:     by_value
      - .offset:         56
        .size:           4
        .value_kind:     by_value
      - .offset:         60
        .size:           4
        .value_kind:     by_value
      - .offset:         64
        .size:           4
        .value_kind:     by_value
      - .offset:         68
        .size:           4
        .value_kind:     by_value
      - .offset:         72
        .size:           4
        .value_kind:     by_value
      - .offset:         76
        .size:           4
        .value_kind:     by_value
      - .offset:         80
        .size:           4
        .value_kind:     by_value
      - .offset:         84
        .size:           4
        .value_kind:     by_value
      - .offset:         88
        .size:           4
        .value_kind:     by_value
      - .offset:         92
        .size:           4
        .value_kind:     by_value
      - .offset:         96
        .size:           4
        .value_kind:     by_value
      - .offset:         100
        .size:           4
        .value_kind:     by_value
      - .offset:         104
        .size:           12
        .value_kind:     by_value
      - .offset:         116
        .size:           12
        .value_kind:     by_value
      - .offset:         128
        .size:           4
        .value_kind:     hidden_block_count_x
      - .offset:         132
        .size:           4
        .value_kind:     hidden_block_count_y
      - .offset:         136
        .size:           4
        .value_kind:     hidden_block_count_z
      - .offset:         140
        .size:           2
        .value_kind:     hidden_group_size_x
      - .offset:         142
        .size:           2
        .value_kind:     hidden_group_size_y
      - .offset:         144
        .size:           2
        .value_kind:     hidden_group_size_z
      - .offset:         146
        .size:           2
        .value_kind:     hidden_remainder_x
      - .offset:         148
        .size:           2
        .value_kind:     hidden_remainder_y
      - .offset:         150
        .size:           2
        .value_kind:     hidden_remainder_z
      - .offset:         168
        .size:           8
        .value_kind:     hidden_global_offset_x
      - .offset:         176
        .size:           8
        .value_kind:     hidden_global_offset_y
      - .offset:         184
        .size:           8
        .value_kind:     hidden_global_offset_z
      - .offset:         192
        .size:           2
        .value_kind:     hidden_grid_dims
      - .offset:         208
        .size:           8
        .value_kind:     hidden_hostcall_buffer
    .group_segment_fixed_size: 0
    .kernarg_segment_align: 8
    .kernarg_segment_size: 384
    .language:       OpenCL C
    .language_version:
      - 2
      - 0
    .max_flat_workgroup_size: 448
    .name:           _ZL13mul_mat_f_idsI15__hip_bfloat162Li64ELi3ELi7EEvPKT_PKfPKiS7_S7_Pfiiiiiiiiiiiiii15HIP_vector_typeIjLj3EESA_
    .private_segment_fixed_size: 16
    .sgpr_count:     38
    .sgpr_spill_count: 0
    .symbol:         _ZL13mul_mat_f_idsI15__hip_bfloat162Li64ELi3ELi7EEvPKT_PKfPKiS7_S7_Pfiiiiiiiiiiiiii15HIP_vector_typeIjLj3EESA_.kd
    .uniform_work_group_size: 1
    .uses_dynamic_stack: false
    .vgpr_count:     38
    .vgpr_spill_count: 0
    .wavefront_size: 64
  - .args:
      - .actual_access:  read_only
        .address_space:  global
        .offset:         0
        .size:           8
        .value_kind:     global_buffer
      - .actual_access:  read_only
        .address_space:  global
        .offset:         8
        .size:           8
        .value_kind:     global_buffer
      - .actual_access:  read_only
        .address_space:  global
        .offset:         16
        .size:           8
        .value_kind:     global_buffer
      - .actual_access:  read_only
        .address_space:  global
        .offset:         24
        .size:           8
        .value_kind:     global_buffer
      - .offset:         32
        .size:           4
        .value_kind:     by_value
      - .offset:         36
        .size:           4
        .value_kind:     by_value
      - .offset:         40
        .size:           4
        .value_kind:     by_value
      - .offset:         44
        .size:           4
        .value_kind:     by_value
      - .offset:         48
        .size:           4
        .value_kind:     by_value
      - .offset:         52
        .size:           4
        .value_kind:     by_value
      - .offset:         56
        .size:           4
        .value_kind:     by_value
      - .offset:         60
        .size:           4
        .value_kind:     by_value
      - .offset:         64
        .size:           4
        .value_kind:     by_value
      - .offset:         68
        .size:           4
        .value_kind:     by_value
      - .offset:         72
        .size:           4
        .value_kind:     by_value
      - .offset:         76
        .size:           4
        .value_kind:     by_value
      - .offset:         80
        .size:           4
        .value_kind:     by_value
      - .offset:         84
        .size:           4
        .value_kind:     by_value
      - .offset:         88
        .size:           4
        .value_kind:     by_value
      - .offset:         92
        .size:           4
        .value_kind:     by_value
      - .offset:         96
        .size:           4
        .value_kind:     hidden_block_count_x
      - .offset:         100
        .size:           4
        .value_kind:     hidden_block_count_y
      - .offset:         104
        .size:           4
        .value_kind:     hidden_block_count_z
      - .offset:         108
        .size:           2
        .value_kind:     hidden_group_size_x
      - .offset:         110
        .size:           2
        .value_kind:     hidden_group_size_y
      - .offset:         112
        .size:           2
        .value_kind:     hidden_group_size_z
      - .offset:         114
        .size:           2
        .value_kind:     hidden_remainder_x
      - .offset:         116
        .size:           2
        .value_kind:     hidden_remainder_y
      - .offset:         118
        .size:           2
        .value_kind:     hidden_remainder_z
      - .offset:         136
        .size:           8
        .value_kind:     hidden_global_offset_x
      - .offset:         144
        .size:           8
        .value_kind:     hidden_global_offset_y
      - .offset:         152
        .size:           8
        .value_kind:     hidden_global_offset_z
      - .offset:         160
        .size:           2
        .value_kind:     hidden_grid_dims
      - .offset:         176
        .size:           8
        .value_kind:     hidden_hostcall_buffer
    .group_segment_fixed_size: 0
    .kernarg_segment_align: 8
    .kernarg_segment_size: 352
    .language:       OpenCL C
    .language_version:
      - 2
      - 0
    .max_flat_workgroup_size: 448
    .name:           _ZL9mul_mat_fI15__hip_bfloat162Li64ELi3ELi7ELb1EEvPKT_PKfPKiPfiiiiiiiiiiiiiiii
    .private_segment_fixed_size: 16
    .sgpr_count:     38
    .sgpr_spill_count: 0
    .symbol:         _ZL9mul_mat_fI15__hip_bfloat162Li64ELi3ELi7ELb1EEvPKT_PKfPKiPfiiiiiiiiiiiiiiii.kd
    .uniform_work_group_size: 1
    .uses_dynamic_stack: false
    .vgpr_count:     38
    .vgpr_spill_count: 0
    .wavefront_size: 64
  - .args:
      - .actual_access:  read_only
        .address_space:  global
        .offset:         0
        .size:           8
        .value_kind:     global_buffer
      - .actual_access:  read_only
        .address_space:  global
        .offset:         8
        .size:           8
        .value_kind:     global_buffer
      - .actual_access:  read_only
        .address_space:  global
        .offset:         16
        .size:           8
        .value_kind:     global_buffer
      - .actual_access:  read_only
        .address_space:  global
        .offset:         24
        .size:           8
        .value_kind:     global_buffer
      - .offset:         32
        .size:           4
        .value_kind:     by_value
      - .offset:         36
        .size:           4
        .value_kind:     by_value
      - .offset:         40
        .size:           4
        .value_kind:     by_value
      - .offset:         44
        .size:           4
        .value_kind:     by_value
      - .offset:         48
        .size:           4
        .value_kind:     by_value
      - .offset:         52
        .size:           4
        .value_kind:     by_value
      - .offset:         56
        .size:           4
        .value_kind:     by_value
      - .offset:         60
        .size:           4
        .value_kind:     by_value
      - .offset:         64
        .size:           4
        .value_kind:     by_value
      - .offset:         68
        .size:           4
        .value_kind:     by_value
      - .offset:         72
        .size:           4
        .value_kind:     by_value
      - .offset:         76
        .size:           4
        .value_kind:     by_value
      - .offset:         80
        .size:           4
        .value_kind:     by_value
      - .offset:         84
        .size:           4
        .value_kind:     by_value
      - .offset:         88
        .size:           4
        .value_kind:     by_value
      - .offset:         92
        .size:           4
        .value_kind:     by_value
      - .offset:         96
        .size:           4
        .value_kind:     hidden_block_count_x
      - .offset:         100
        .size:           4
        .value_kind:     hidden_block_count_y
      - .offset:         104
        .size:           4
        .value_kind:     hidden_block_count_z
      - .offset:         108
        .size:           2
        .value_kind:     hidden_group_size_x
      - .offset:         110
        .size:           2
        .value_kind:     hidden_group_size_y
      - .offset:         112
        .size:           2
        .value_kind:     hidden_group_size_z
      - .offset:         114
        .size:           2
        .value_kind:     hidden_remainder_x
      - .offset:         116
        .size:           2
        .value_kind:     hidden_remainder_y
      - .offset:         118
        .size:           2
        .value_kind:     hidden_remainder_z
      - .offset:         136
        .size:           8
        .value_kind:     hidden_global_offset_x
      - .offset:         144
        .size:           8
        .value_kind:     hidden_global_offset_y
      - .offset:         152
        .size:           8
        .value_kind:     hidden_global_offset_z
      - .offset:         160
        .size:           2
        .value_kind:     hidden_grid_dims
      - .offset:         176
        .size:           8
        .value_kind:     hidden_hostcall_buffer
    .group_segment_fixed_size: 0
    .kernarg_segment_align: 8
    .kernarg_segment_size: 352
    .language:       OpenCL C
    .language_version:
      - 2
      - 0
    .max_flat_workgroup_size: 448
    .name:           _ZL9mul_mat_fI15__hip_bfloat162Li64ELi3ELi7ELb0EEvPKT_PKfPKiPfiiiiiiiiiiiiiiii
    .private_segment_fixed_size: 16
    .sgpr_count:     38
    .sgpr_spill_count: 0
    .symbol:         _ZL9mul_mat_fI15__hip_bfloat162Li64ELi3ELi7ELb0EEvPKT_PKfPKiPfiiiiiiiiiiiiiiii.kd
    .uniform_work_group_size: 1
    .uses_dynamic_stack: false
    .vgpr_count:     38
    .vgpr_spill_count: 0
    .wavefront_size: 64
  - .args:
      - .actual_access:  read_only
        .address_space:  global
        .offset:         0
        .size:           8
        .value_kind:     global_buffer
      - .actual_access:  read_only
        .address_space:  global
        .offset:         8
        .size:           8
        .value_kind:     global_buffer
      - .actual_access:  read_only
        .address_space:  global
        .offset:         16
        .size:           8
        .value_kind:     global_buffer
      - .actual_access:  read_only
        .address_space:  global
        .offset:         24
        .size:           8
        .value_kind:     global_buffer
      - .actual_access:  read_only
        .address_space:  global
        .offset:         32
        .size:           8
        .value_kind:     global_buffer
      - .actual_access:  read_only
        .address_space:  global
        .offset:         40
        .size:           8
        .value_kind:     global_buffer
      - .offset:         48
        .size:           4
        .value_kind:     by_value
      - .offset:         52
        .size:           4
        .value_kind:     by_value
      - .offset:         56
        .size:           4
        .value_kind:     by_value
      - .offset:         60
        .size:           4
        .value_kind:     by_value
      - .offset:         64
        .size:           4
        .value_kind:     by_value
      - .offset:         68
        .size:           4
        .value_kind:     by_value
      - .offset:         72
        .size:           4
        .value_kind:     by_value
      - .offset:         76
        .size:           4
        .value_kind:     by_value
      - .offset:         80
        .size:           4
        .value_kind:     by_value
      - .offset:         84
        .size:           4
        .value_kind:     by_value
      - .offset:         88
        .size:           4
        .value_kind:     by_value
      - .offset:         92
        .size:           4
        .value_kind:     by_value
      - .offset:         96
        .size:           4
        .value_kind:     by_value
      - .offset:         100
        .size:           4
        .value_kind:     by_value
      - .offset:         104
        .size:           12
        .value_kind:     by_value
      - .offset:         116
        .size:           12
        .value_kind:     by_value
      - .offset:         128
        .size:           4
        .value_kind:     hidden_block_count_x
      - .offset:         132
        .size:           4
        .value_kind:     hidden_block_count_y
      - .offset:         136
        .size:           4
        .value_kind:     hidden_block_count_z
      - .offset:         140
        .size:           2
        .value_kind:     hidden_group_size_x
      - .offset:         142
        .size:           2
        .value_kind:     hidden_group_size_y
      - .offset:         144
        .size:           2
        .value_kind:     hidden_group_size_z
      - .offset:         146
        .size:           2
        .value_kind:     hidden_remainder_x
      - .offset:         148
        .size:           2
        .value_kind:     hidden_remainder_y
      - .offset:         150
        .size:           2
        .value_kind:     hidden_remainder_z
      - .offset:         168
        .size:           8
        .value_kind:     hidden_global_offset_x
      - .offset:         176
        .size:           8
        .value_kind:     hidden_global_offset_y
      - .offset:         184
        .size:           8
        .value_kind:     hidden_global_offset_z
      - .offset:         192
        .size:           2
        .value_kind:     hidden_grid_dims
      - .offset:         208
        .size:           8
        .value_kind:     hidden_hostcall_buffer
    .group_segment_fixed_size: 0
    .kernarg_segment_align: 8
    .kernarg_segment_size: 384
    .language:       OpenCL C
    .language_version:
      - 2
      - 0
    .max_flat_workgroup_size: 512
    .name:           _ZL13mul_mat_f_idsI15__hip_bfloat162Li64ELi3ELi8EEvPKT_PKfPKiS7_S7_Pfiiiiiiiiiiiiii15HIP_vector_typeIjLj3EESA_
    .private_segment_fixed_size: 16
    .sgpr_count:     38
    .sgpr_spill_count: 0
    .symbol:         _ZL13mul_mat_f_idsI15__hip_bfloat162Li64ELi3ELi8EEvPKT_PKfPKiS7_S7_Pfiiiiiiiiiiiiii15HIP_vector_typeIjLj3EESA_.kd
    .uniform_work_group_size: 1
    .uses_dynamic_stack: false
    .vgpr_count:     38
    .vgpr_spill_count: 0
    .wavefront_size: 64
  - .args:
      - .actual_access:  read_only
        .address_space:  global
        .offset:         0
        .size:           8
        .value_kind:     global_buffer
      - .actual_access:  read_only
        .address_space:  global
        .offset:         8
        .size:           8
        .value_kind:     global_buffer
      - .actual_access:  read_only
        .address_space:  global
        .offset:         16
        .size:           8
        .value_kind:     global_buffer
      - .actual_access:  read_only
        .address_space:  global
        .offset:         24
        .size:           8
        .value_kind:     global_buffer
      - .offset:         32
        .size:           4
        .value_kind:     by_value
      - .offset:         36
        .size:           4
        .value_kind:     by_value
      - .offset:         40
        .size:           4
        .value_kind:     by_value
      - .offset:         44
        .size:           4
        .value_kind:     by_value
      - .offset:         48
        .size:           4
        .value_kind:     by_value
      - .offset:         52
        .size:           4
        .value_kind:     by_value
      - .offset:         56
        .size:           4
        .value_kind:     by_value
      - .offset:         60
        .size:           4
        .value_kind:     by_value
      - .offset:         64
        .size:           4
        .value_kind:     by_value
      - .offset:         68
        .size:           4
        .value_kind:     by_value
      - .offset:         72
        .size:           4
        .value_kind:     by_value
      - .offset:         76
        .size:           4
        .value_kind:     by_value
      - .offset:         80
        .size:           4
        .value_kind:     by_value
      - .offset:         84
        .size:           4
        .value_kind:     by_value
      - .offset:         88
        .size:           4
        .value_kind:     by_value
      - .offset:         92
        .size:           4
        .value_kind:     by_value
      - .offset:         96
        .size:           4
        .value_kind:     hidden_block_count_x
      - .offset:         100
        .size:           4
        .value_kind:     hidden_block_count_y
      - .offset:         104
        .size:           4
        .value_kind:     hidden_block_count_z
      - .offset:         108
        .size:           2
        .value_kind:     hidden_group_size_x
      - .offset:         110
        .size:           2
        .value_kind:     hidden_group_size_y
      - .offset:         112
        .size:           2
        .value_kind:     hidden_group_size_z
      - .offset:         114
        .size:           2
        .value_kind:     hidden_remainder_x
      - .offset:         116
        .size:           2
        .value_kind:     hidden_remainder_y
      - .offset:         118
        .size:           2
        .value_kind:     hidden_remainder_z
      - .offset:         136
        .size:           8
        .value_kind:     hidden_global_offset_x
      - .offset:         144
        .size:           8
        .value_kind:     hidden_global_offset_y
      - .offset:         152
        .size:           8
        .value_kind:     hidden_global_offset_z
      - .offset:         160
        .size:           2
        .value_kind:     hidden_grid_dims
      - .offset:         176
        .size:           8
        .value_kind:     hidden_hostcall_buffer
    .group_segment_fixed_size: 0
    .kernarg_segment_align: 8
    .kernarg_segment_size: 352
    .language:       OpenCL C
    .language_version:
      - 2
      - 0
    .max_flat_workgroup_size: 512
    .name:           _ZL9mul_mat_fI15__hip_bfloat162Li64ELi3ELi8ELb1EEvPKT_PKfPKiPfiiiiiiiiiiiiiiii
    .private_segment_fixed_size: 16
    .sgpr_count:     38
    .sgpr_spill_count: 0
    .symbol:         _ZL9mul_mat_fI15__hip_bfloat162Li64ELi3ELi8ELb1EEvPKT_PKfPKiPfiiiiiiiiiiiiiiii.kd
    .uniform_work_group_size: 1
    .uses_dynamic_stack: false
    .vgpr_count:     38
    .vgpr_spill_count: 0
    .wavefront_size: 64
  - .args:
      - .actual_access:  read_only
        .address_space:  global
        .offset:         0
        .size:           8
        .value_kind:     global_buffer
      - .actual_access:  read_only
        .address_space:  global
        .offset:         8
        .size:           8
        .value_kind:     global_buffer
      - .actual_access:  read_only
        .address_space:  global
        .offset:         16
        .size:           8
        .value_kind:     global_buffer
      - .actual_access:  read_only
        .address_space:  global
        .offset:         24
        .size:           8
        .value_kind:     global_buffer
      - .offset:         32
        .size:           4
        .value_kind:     by_value
      - .offset:         36
        .size:           4
        .value_kind:     by_value
      - .offset:         40
        .size:           4
        .value_kind:     by_value
      - .offset:         44
        .size:           4
        .value_kind:     by_value
      - .offset:         48
        .size:           4
        .value_kind:     by_value
      - .offset:         52
        .size:           4
        .value_kind:     by_value
      - .offset:         56
        .size:           4
        .value_kind:     by_value
      - .offset:         60
        .size:           4
        .value_kind:     by_value
      - .offset:         64
        .size:           4
        .value_kind:     by_value
      - .offset:         68
        .size:           4
        .value_kind:     by_value
      - .offset:         72
        .size:           4
        .value_kind:     by_value
      - .offset:         76
        .size:           4
        .value_kind:     by_value
      - .offset:         80
        .size:           4
        .value_kind:     by_value
      - .offset:         84
        .size:           4
        .value_kind:     by_value
      - .offset:         88
        .size:           4
        .value_kind:     by_value
      - .offset:         92
        .size:           4
        .value_kind:     by_value
      - .offset:         96
        .size:           4
        .value_kind:     hidden_block_count_x
      - .offset:         100
        .size:           4
        .value_kind:     hidden_block_count_y
      - .offset:         104
        .size:           4
        .value_kind:     hidden_block_count_z
      - .offset:         108
        .size:           2
        .value_kind:     hidden_group_size_x
      - .offset:         110
        .size:           2
        .value_kind:     hidden_group_size_y
      - .offset:         112
        .size:           2
        .value_kind:     hidden_group_size_z
      - .offset:         114
        .size:           2
        .value_kind:     hidden_remainder_x
      - .offset:         116
        .size:           2
        .value_kind:     hidden_remainder_y
      - .offset:         118
        .size:           2
        .value_kind:     hidden_remainder_z
      - .offset:         136
        .size:           8
        .value_kind:     hidden_global_offset_x
      - .offset:         144
        .size:           8
        .value_kind:     hidden_global_offset_y
      - .offset:         152
        .size:           8
        .value_kind:     hidden_global_offset_z
      - .offset:         160
        .size:           2
        .value_kind:     hidden_grid_dims
      - .offset:         176
        .size:           8
        .value_kind:     hidden_hostcall_buffer
    .group_segment_fixed_size: 0
    .kernarg_segment_align: 8
    .kernarg_segment_size: 352
    .language:       OpenCL C
    .language_version:
      - 2
      - 0
    .max_flat_workgroup_size: 512
    .name:           _ZL9mul_mat_fI15__hip_bfloat162Li64ELi3ELi8ELb0EEvPKT_PKfPKiPfiiiiiiiiiiiiiiii
    .private_segment_fixed_size: 16
    .sgpr_count:     38
    .sgpr_spill_count: 0
    .symbol:         _ZL9mul_mat_fI15__hip_bfloat162Li64ELi3ELi8ELb0EEvPKT_PKfPKiPfiiiiiiiiiiiiiiii.kd
    .uniform_work_group_size: 1
    .uses_dynamic_stack: false
    .vgpr_count:     38
    .vgpr_spill_count: 0
    .wavefront_size: 64
amdhsa.target:   amdgcn-amd-amdhsa--gfx906
amdhsa.version:
  - 1
  - 2
...

	.end_amdgpu_metadata
